;; amdgpu-corpus repo=ROCm/rocFFT kind=compiled arch=gfx1201 opt=O3
	.text
	.amdgcn_target "amdgcn-amd-amdhsa--gfx1201"
	.amdhsa_code_object_version 6
	.protected	bluestein_single_back_len1666_dim1_half_op_CI_CI ; -- Begin function bluestein_single_back_len1666_dim1_half_op_CI_CI
	.globl	bluestein_single_back_len1666_dim1_half_op_CI_CI
	.p2align	8
	.type	bluestein_single_back_len1666_dim1_half_op_CI_CI,@function
bluestein_single_back_len1666_dim1_half_op_CI_CI: ; @bluestein_single_back_len1666_dim1_half_op_CI_CI
; %bb.0:
	s_load_b128 s[4:7], s[0:1], 0x28
	v_mul_u32_u24_e32 v1, 0x227, v0
	s_mov_b32 s2, exec_lo
	v_mov_b32_e32 v17, 0
	s_delay_alu instid0(VALU_DEP_2) | instskip(NEXT) | instid1(VALU_DEP_1)
	v_lshrrev_b32_e32 v1, 16, v1
	v_add_nc_u32_e32 v16, ttmp9, v1
	s_wait_kmcnt 0x0
	s_delay_alu instid0(VALU_DEP_1)
	v_cmpx_gt_u64_e64 s[4:5], v[16:17]
	s_cbranch_execz .LBB0_15
; %bb.1:
	s_clause 0x1
	s_load_b64 s[12:13], s[0:1], 0x0
	s_load_b64 s[14:15], s[0:1], 0x38
	v_mul_lo_u16 v1, 0x77, v1
	s_delay_alu instid0(VALU_DEP_1) | instskip(NEXT) | instid1(VALU_DEP_1)
	v_sub_nc_u16 v0, v0, v1
	v_and_b32_e32 v42, 0xffff, v0
	v_cmp_gt_u16_e32 vcc_lo, 0x62, v0
	s_delay_alu instid0(VALU_DEP_2)
	v_lshlrev_b32_e32 v41, 2, v42
	s_and_saveexec_b32 s3, vcc_lo
	s_cbranch_execz .LBB0_3
; %bb.2:
	s_load_b64 s[4:5], s[0:1], 0x18
	s_delay_alu instid0(VALU_DEP_1)
	v_add_nc_u32_e32 v37, 0x800, v41
	v_add_nc_u32_e32 v39, 0xe00, v41
	;; [unrolled: 1-line block ×3, first 2 shown]
	s_wait_kmcnt 0x0
	s_load_b128 s[8:11], s[4:5], 0x0
	s_wait_kmcnt 0x0
	v_mad_co_u64_u32 v[0:1], null, s10, v16, 0
	v_mad_co_u64_u32 v[2:3], null, s8, v42, 0
	s_mul_u64 s[4:5], s[8:9], 0x188
	s_delay_alu instid0(VALU_DEP_1) | instskip(NEXT) | instid1(VALU_DEP_2)
	v_mad_co_u64_u32 v[4:5], null, s11, v16, v[1:2]
	v_mov_b32_e32 v1, v3
	s_delay_alu instid0(VALU_DEP_1) | instskip(NEXT) | instid1(VALU_DEP_3)
	v_mad_co_u64_u32 v[5:6], null, s9, v42, v[1:2]
	v_mov_b32_e32 v1, v4
	s_clause 0x7
	global_load_b32 v4, v41, s[12:13]
	global_load_b32 v6, v41, s[12:13] offset:392
	global_load_b32 v7, v41, s[12:13] offset:784
	;; [unrolled: 1-line block ×7, first 2 shown]
	v_lshlrev_b64_e32 v[0:1], 2, v[0:1]
	v_mov_b32_e32 v3, v5
	s_clause 0x8
	global_load_b32 v5, v41, s[12:13] offset:3136
	global_load_b32 v13, v41, s[12:13] offset:3528
	global_load_b32 v14, v41, s[12:13] offset:3920
	global_load_b32 v15, v41, s[12:13] offset:4312
	global_load_b32 v17, v41, s[12:13] offset:4704
	global_load_b32 v18, v41, s[12:13] offset:5096
	global_load_b32 v19, v41, s[12:13] offset:5488
	global_load_b32 v20, v41, s[12:13] offset:5880
	global_load_b32 v21, v41, s[12:13] offset:6272
	v_lshlrev_b64_e32 v[2:3], 2, v[2:3]
	v_add_co_u32 v0, s2, s6, v0
	s_delay_alu instid0(VALU_DEP_1) | instskip(NEXT) | instid1(VALU_DEP_2)
	v_add_co_ci_u32_e64 v1, s2, s7, v1, s2
	v_add_co_u32 v0, s2, v0, v2
	s_wait_alu 0xf1ff
	s_delay_alu instid0(VALU_DEP_2) | instskip(SKIP_1) | instid1(VALU_DEP_2)
	v_add_co_ci_u32_e64 v1, s2, v1, v3, s2
	s_wait_alu 0xfffe
	v_add_co_u32 v2, s2, v0, s4
	s_wait_alu 0xf1ff
	s_delay_alu instid0(VALU_DEP_2)
	v_add_co_ci_u32_e64 v3, s2, s5, v1, s2
	s_clause 0x1
	global_load_b32 v22, v[0:1], off
	global_load_b32 v23, v[2:3], off
	v_add_co_u32 v0, s2, v2, s4
	s_wait_alu 0xf1ff
	v_add_co_ci_u32_e64 v1, s2, s5, v3, s2
	s_delay_alu instid0(VALU_DEP_2) | instskip(SKIP_1) | instid1(VALU_DEP_2)
	v_add_co_u32 v2, s2, v0, s4
	s_wait_alu 0xf1ff
	v_add_co_ci_u32_e64 v3, s2, s5, v1, s2
	s_clause 0x1
	global_load_b32 v24, v[0:1], off
	global_load_b32 v25, v[2:3], off
	v_add_co_u32 v0, s2, v2, s4
	s_wait_alu 0xf1ff
	v_add_co_ci_u32_e64 v1, s2, s5, v3, s2
	s_delay_alu instid0(VALU_DEP_2) | instskip(SKIP_1) | instid1(VALU_DEP_2)
	v_add_co_u32 v2, s2, v0, s4
	s_wait_alu 0xf1ff
	v_add_co_ci_u32_e64 v3, s2, s5, v1, s2
	global_load_b32 v26, v[0:1], off
	global_load_b32 v27, v[2:3], off
	v_add_co_u32 v0, s2, v2, s4
	s_wait_alu 0xf1ff
	v_add_co_ci_u32_e64 v1, s2, s5, v3, s2
	s_delay_alu instid0(VALU_DEP_2) | instskip(SKIP_1) | instid1(VALU_DEP_2)
	v_add_co_u32 v2, s2, v0, s4
	s_wait_alu 0xf1ff
	v_add_co_ci_u32_e64 v3, s2, s5, v1, s2
	global_load_b32 v28, v[0:1], off
	v_add_co_u32 v0, s2, v2, s4
	s_wait_alu 0xf1ff
	v_add_co_ci_u32_e64 v1, s2, s5, v3, s2
	global_load_b32 v29, v[2:3], off
	global_load_b32 v30, v[0:1], off
	v_add_co_u32 v0, s2, v0, s4
	s_wait_alu 0xf1ff
	v_add_co_ci_u32_e64 v1, s2, s5, v1, s2
	s_delay_alu instid0(VALU_DEP_2) | instskip(SKIP_1) | instid1(VALU_DEP_2)
	v_add_co_u32 v2, s2, v0, s4
	s_wait_alu 0xf1ff
	v_add_co_ci_u32_e64 v3, s2, s5, v1, s2
	global_load_b32 v31, v[0:1], off
	v_add_co_u32 v0, s2, v2, s4
	s_wait_alu 0xf1ff
	v_add_co_ci_u32_e64 v1, s2, s5, v3, s2
	global_load_b32 v32, v[2:3], off
	global_load_b32 v33, v[0:1], off
	v_add_co_u32 v0, s2, v0, s4
	s_wait_alu 0xf1ff
	v_add_co_ci_u32_e64 v1, s2, s5, v1, s2
	s_delay_alu instid0(VALU_DEP_2) | instskip(SKIP_1) | instid1(VALU_DEP_2)
	v_add_co_u32 v2, s2, v0, s4
	s_wait_alu 0xf1ff
	v_add_co_ci_u32_e64 v3, s2, s5, v1, s2
	global_load_b32 v34, v[0:1], off
	v_add_co_u32 v0, s2, v2, s4
	s_wait_alu 0xf1ff
	v_add_co_ci_u32_e64 v1, s2, s5, v3, s2
	global_load_b32 v35, v[2:3], off
	v_add_co_u32 v2, s2, v0, s4
	s_wait_alu 0xf1ff
	v_add_co_ci_u32_e64 v3, s2, s5, v1, s2
	global_load_b32 v36, v[0:1], off
	;; [unrolled: 4-line block ×3, first 2 shown]
	global_load_b32 v0, v[0:1], off
	v_add_nc_u32_e32 v1, 0x200, v41
	v_add_nc_u32_e32 v3, 0x400, v41
	s_wait_loadcnt 0x21
	v_lshrrev_b32_e32 v40, 16, v4
	s_wait_loadcnt 0x20
	v_lshrrev_b32_e32 v43, 16, v6
	s_wait_loadcnt 0x1f
	v_lshrrev_b32_e32 v44, 16, v7
	s_wait_loadcnt 0x1e
	v_lshrrev_b32_e32 v45, 16, v8
	s_wait_loadcnt 0x1d
	v_lshrrev_b32_e32 v46, 16, v9
	s_wait_loadcnt 0x1c
	v_lshrrev_b32_e32 v47, 16, v10
	s_wait_loadcnt 0x1b
	v_lshrrev_b32_e32 v48, 16, v11
	s_wait_loadcnt 0x1a
	v_lshrrev_b32_e32 v49, 16, v12
	s_wait_loadcnt 0x19
	v_lshrrev_b32_e32 v50, 16, v5
	s_wait_loadcnt 0x18
	v_lshrrev_b32_e32 v51, 16, v13
	s_wait_loadcnt 0x17
	v_lshrrev_b32_e32 v52, 16, v14
	s_wait_loadcnt 0x16
	v_lshrrev_b32_e32 v53, 16, v15
	s_wait_loadcnt 0x15
	v_lshrrev_b32_e32 v54, 16, v17
	s_wait_loadcnt 0x14
	v_lshrrev_b32_e32 v56, 16, v18
	s_wait_loadcnt 0x13
	v_lshrrev_b32_e32 v57, 16, v19
	s_wait_loadcnt 0x12
	v_lshrrev_b32_e32 v58, 16, v20
	s_wait_loadcnt 0x11
	v_lshrrev_b32_e32 v61, 16, v21
	s_wait_loadcnt 0x10
	v_lshrrev_b32_e32 v55, 16, v22
	v_mul_f16_e32 v59, v40, v22
	s_wait_loadcnt 0xf
	v_lshrrev_b32_e32 v60, 16, v23
	v_mul_f16_e32 v62, v43, v23
	v_mul_f16_e32 v40, v40, v55
	v_fma_f16 v55, v4, v55, -v59
	s_delay_alu instid0(VALU_DEP_2)
	v_fmac_f16_e32 v40, v4, v22
	v_mul_f16_e32 v4, v43, v60
	v_fma_f16 v43, v6, v60, -v62
	s_wait_loadcnt 0xe
	v_lshrrev_b32_e32 v22, 16, v24
	v_mul_f16_e32 v59, v44, v24
	v_fmac_f16_e32 v4, v6, v23
	s_wait_loadcnt 0xd
	v_lshrrev_b32_e32 v23, 16, v25
	v_pack_b32_f16 v40, v40, v55
	v_mul_f16_e32 v6, v44, v22
	v_mul_f16_e32 v44, v45, v25
	v_fma_f16 v22, v7, v22, -v59
	v_pack_b32_f16 v4, v4, v43
	s_delay_alu instid0(VALU_DEP_4)
	v_fmac_f16_e32 v6, v7, v24
	v_mul_f16_e32 v7, v45, v23
	s_wait_loadcnt 0xc
	v_lshrrev_b32_e32 v24, 16, v26
	v_fma_f16 v23, v8, v23, -v44
	v_mul_f16_e32 v43, v46, v26
	ds_store_2addr_b32 v41, v40, v4 offset1:98
	v_pack_b32_f16 v4, v6, v22
	v_fmac_f16_e32 v7, v8, v25
	v_mul_f16_e32 v6, v46, v24
	s_wait_loadcnt 0xb
	v_lshrrev_b32_e32 v8, 16, v27
	v_mul_f16_e32 v22, v47, v27
	v_fma_f16 v24, v9, v24, -v43
	v_pack_b32_f16 v7, v7, v23
	v_fmac_f16_e32 v6, v9, v26
	v_mul_f16_e32 v9, v47, v8
	v_fma_f16 v8, v10, v8, -v22
	s_wait_loadcnt 0xa
	v_lshrrev_b32_e32 v22, 16, v28
	v_mul_f16_e32 v23, v48, v28
	ds_store_2addr_b32 v1, v4, v7 offset0:68 offset1:166
	v_pack_b32_f16 v1, v6, v24
	v_fmac_f16_e32 v9, v10, v27
	v_mul_f16_e32 v4, v48, v22
	s_wait_loadcnt 0x9
	v_lshrrev_b32_e32 v6, 16, v29
	v_mul_f16_e32 v7, v49, v29
	v_fma_f16 v10, v11, v22, -v23
	v_pack_b32_f16 v8, v9, v8
	v_fmac_f16_e32 v4, v11, v28
	v_mul_f16_e32 v9, v49, v6
	v_fma_f16 v6, v12, v6, -v7
	s_wait_loadcnt 0x8
	v_lshrrev_b32_e32 v7, 16, v30
	v_mul_f16_e32 v11, v50, v30
	ds_store_2addr_b32 v3, v1, v8 offset0:136 offset1:234
	;; [unrolled: 15-line block ×3, first 2 shown]
	v_fmac_f16_e32 v5, v13, v31
	s_wait_loadcnt 0x5
	v_lshrrev_b32_e32 v6, 16, v33
	v_pack_b32_f16 v1, v3, v7
	v_mul_f16_e32 v3, v52, v8
	v_fma_f16 v7, v14, v8, -v9
	v_mul_f16_e32 v8, v53, v33
	v_pack_b32_f16 v4, v5, v4
	v_mul_f16_e32 v5, v53, v6
	v_fmac_f16_e32 v3, v14, v32
	s_wait_loadcnt 0x4
	v_lshrrev_b32_e32 v9, 16, v34
	v_fma_f16 v6, v15, v6, -v8
	v_mul_f16_e32 v8, v54, v34
	v_fmac_f16_e32 v5, v15, v33
	s_wait_loadcnt 0x3
	v_lshrrev_b32_e32 v10, 16, v35
	v_pack_b32_f16 v3, v3, v7
	v_mul_f16_e32 v7, v54, v9
	v_fma_f16 v8, v17, v9, -v8
	v_mul_f16_e32 v9, v56, v35
	v_pack_b32_f16 v5, v5, v6
	v_mul_f16_e32 v6, v56, v10
	v_fmac_f16_e32 v7, v17, v34
	s_wait_loadcnt 0x2
	v_lshrrev_b32_e32 v11, 16, v36
	v_fma_f16 v9, v18, v10, -v9
	v_mul_f16_e32 v10, v57, v36
	v_fmac_f16_e32 v6, v18, v35
	s_wait_loadcnt 0x1
	v_lshrrev_b32_e32 v12, 16, v2
	s_wait_loadcnt 0x0
	v_lshrrev_b32_e32 v13, 16, v0
	v_pack_b32_f16 v7, v7, v8
	v_mul_f16_e32 v8, v57, v11
	v_fma_f16 v10, v19, v11, -v10
	v_mul_f16_e32 v11, v58, v2
	v_pack_b32_f16 v6, v6, v9
	v_mul_f16_e32 v9, v58, v12
	v_mul_f16_e32 v14, v61, v13
	;; [unrolled: 1-line block ×3, first 2 shown]
	v_fmac_f16_e32 v8, v19, v36
	v_fma_f16 v11, v20, v12, -v11
	v_fmac_f16_e32 v9, v20, v2
	v_fmac_f16_e32 v14, v21, v0
	v_fma_f16 v0, v21, v13, -v15
	v_add_nc_u32_e32 v2, 0x1000, v41
	v_pack_b32_f16 v8, v8, v10
	v_pack_b32_f16 v9, v9, v11
	v_add_nc_u32_e32 v10, 0x1400, v41
	v_pack_b32_f16 v0, v14, v0
	ds_store_2addr_b32 v38, v1, v4 offset0:16 offset1:114
	ds_store_2addr_b32 v39, v3, v5 offset0:84 offset1:182
	;; [unrolled: 1-line block ×4, first 2 shown]
	ds_store_b32 v41, v0 offset:6272
.LBB0_3:
	s_or_b32 exec_lo, exec_lo, s3
	s_clause 0x1
	s_load_b64 s[2:3], s[0:1], 0x20
	s_load_b64 s[0:1], s[0:1], 0x8
	v_mov_b32_e32 v4, 0
	global_wb scope:SCOPE_SE
	s_wait_dscnt 0x0
	s_wait_kmcnt 0x0
	s_barrier_signal -1
	s_barrier_wait -1
	global_inv scope:SCOPE_SE
                                        ; implicit-def: $vgpr19
                                        ; implicit-def: $vgpr1
                                        ; implicit-def: $vgpr3
                                        ; implicit-def: $vgpr7
                                        ; implicit-def: $vgpr9
                                        ; implicit-def: $vgpr13
                                        ; implicit-def: $vgpr11
                                        ; implicit-def: $vgpr15
                                        ; implicit-def: $vgpr35
                                        ; kill: def $vgpr0 killed $sgpr0 killed $exec
	s_and_saveexec_b32 s4, vcc_lo
	s_cbranch_execz .LBB0_5
; %bb.4:
	v_add_nc_u32_e32 v0, 0x200, v41
	v_add_nc_u32_e32 v1, 0x400, v41
	;; [unrolled: 1-line block ×3, first 2 shown]
	ds_load_2addr_b32 v[4:5], v41 offset1:98
	v_add_nc_u32_e32 v3, 0x1000, v41
	ds_load_2addr_b32 v[14:15], v0 offset0:68 offset1:166
	ds_load_2addr_b32 v[10:11], v1 offset0:136 offset1:234
	v_add_nc_u32_e32 v0, 0xc00, v41
	v_add_nc_u32_e32 v1, 0xe00, v41
	;; [unrolled: 1-line block ×3, first 2 shown]
	ds_load_2addr_b32 v[12:13], v2 offset0:76 offset1:174
	ds_load_2addr_b32 v[8:9], v0 offset0:16 offset1:114
	;; [unrolled: 1-line block ×5, first 2 shown]
	ds_load_b32 v19, v41 offset:6272
	s_wait_dscnt 0x7
	v_alignbit_b32 v35, v14, v14, 16
.LBB0_5:
	s_wait_alu 0xfffe
	s_or_b32 exec_lo, exec_lo, s4
	s_wait_dscnt 0x0
	v_pk_add_f16 v14, v5, v19 neg_lo:[0,1] neg_hi:[0,1]
	v_pk_add_f16 v21, v19, v5
	v_lshrrev_b32_e32 v34, 16, v4
	v_pk_add_f16 v22, v35, v1 op_sel:[1,0] op_sel_hi:[0,1] neg_lo:[0,1] neg_hi:[0,1]
	v_pk_add_f16 v20, v1, v35 op_sel:[1,0] op_sel_hi:[0,1]
	v_mul_f16_e32 v39, 0xb964, v14
	v_lshrrev_b32_e32 v59, 16, v21
	v_lshrrev_b32_e32 v104, 16, v14
	v_mul_f16_e32 v61, 0xbb29, v14
	v_lshrrev_b32_e32 v103, 16, v22
	v_lshrrev_b32_e32 v58, 16, v20
	v_fma_f16 v23, v59, 0x39e9, -v39
	v_mul_f16_e32 v30, 0xb5c8, v104
	v_mul_f16_e32 v56, 0xbb29, v104
	v_mul_f16_e32 v31, 0xb964, v103
	v_fma_f16 v24, v59, 0x3722, -v61
	v_add_f16_e32 v27, v23, v34
	v_pk_add_f16 v23, v15, v0 neg_lo:[0,1] neg_hi:[0,1]
	v_fmamk_f16 v18, v21, 0x3b76, v30
	v_fmamk_f16 v25, v21, 0x3722, v56
	;; [unrolled: 1-line block ×3, first 2 shown]
	v_add_f16_e32 v29, v24, v34
	v_lshrrev_b32_e32 v106, 16, v23
	v_add_f16_e32 v18, v18, v4
	v_mul_f16_e32 v54, 0xbbf7, v22
	v_mul_f16_e32 v60, 0xba62, v103
	v_pk_add_f16 v24, v0, v15
	v_mul_f16_e32 v33, 0xbb29, v106
	v_add_f16_e32 v25, v25, v4
	v_add_f16_e32 v18, v26, v18
	v_fma_f16 v26, v20, 0x2de8, -v54
	v_fmamk_f16 v36, v58, 0xb8d2, v60
	v_fmamk_f16 v38, v24, 0x3722, v33
	v_lshrrev_b32_e32 v63, 16, v24
	v_mul_f16_e32 v50, 0xba62, v23
	v_mul_f16_e32 v66, 0xba62, v22
	v_add_f16_e32 v27, v26, v27
	v_add_f16_e32 v40, v36, v25
	v_pk_add_f16 v25, v10, v3 neg_lo:[0,1] neg_hi:[0,1]
	v_add_f16_e32 v18, v38, v18
	v_fma_f16 v38, v63, 0xb8d2, -v50
	v_fma_f16 v37, v20, 0xb8d2, -v66
	v_mul_f16_e32 v62, 0x31e1, v106
	v_lshrrev_b32_e32 v107, 16, v25
	v_mul_f16_e32 v71, 0x31e1, v23
	v_pk_add_f16 v26, v3, v10
	v_add_f16_e32 v38, v38, v27
	v_pk_add_f16 v27, v11, v2 neg_lo:[0,1] neg_hi:[0,1]
	v_pk_mul_f16 v17, 0x3b7639e9, v21
	v_add_f16_e32 v29, v37, v29
	v_mul_f16_e32 v37, 0xbbf7, v107
	v_fmamk_f16 v43, v24, 0xbbdd, v62
	v_fma_f16 v46, v63, 0xbbdd, -v71
	v_lshrrev_b32_e32 v69, 16, v26
	v_mul_f16_e32 v57, 0xb1e1, v25
	v_lshrrev_b32_e32 v109, 16, v27
	v_mul_f16_e32 v67, 0x3bb2, v107
	v_pk_fma_f16 v28, 0xb964b5c8, v14, v17 op_sel:[0,0,1] op_sel_hi:[1,1,0]
	v_pk_mul_f16 v44, 0xbbf7b964, v22
	v_fmamk_f16 v47, v26, 0x2de8, v37
	v_add_f16_e32 v43, v43, v40
	v_add_f16_e32 v46, v46, v29
	v_fma_f16 v48, v69, 0xbbdd, -v57
	v_pk_add_f16 v29, v2, v11
	v_mul_f16_e32 v51, 0xbbb2, v109
	v_fmamk_f16 v49, v26, 0xb461, v67
	v_pk_fma_f16 v32, 0x2de839e9, v20, v44
	v_pk_mul_f16 v45, 0x3722b8d2, v24
	v_add_f16_e32 v18, v47, v18
	v_add_f16_e32 v80, v48, v38
	v_fmamk_f16 v48, v29, 0xb461, v51
	v_add_f16_e32 v43, v49, v43
	v_lshrrev_b32_e32 v49, 16, v28
	v_pk_fma_f16 v36, 0xba62bb29, v23, v45 op_sel:[0,0,1] op_sel_hi:[1,1,0]
	v_pk_mul_f16 v47, 0x2de8bbdd, v26
	v_mul_f16_e32 v75, 0x3bb2, v25
	v_add_f16_e32 v82, v48, v18
	v_add_f16_e32 v18, v49, v4
	v_lshrrev_b32_e32 v49, 16, v32
	v_pk_fma_f16 v40, 0xb1e1bbf7, v25, v47 op_sel:[0,0,1] op_sel_hi:[1,1,0]
	v_fma_f16 v52, v69, 0xb461, -v75
	v_mul_f16_e32 v72, 0x3964, v109
	v_pk_mul_f16 v84, 0xb461bacd, v29
	v_pk_add_f16 v48, v7, v12
	v_add_f16_e32 v18, v49, v18
	v_lshrrev_b32_e32 v49, 16, v36
	v_add_f16_e32 v46, v52, v46
	v_pk_add_f16 v38, v12, v7 neg_lo:[0,1] neg_hi:[0,1]
	v_fmamk_f16 v52, v29, 0x39e9, v72
	v_pk_fma_f16 v64, 0x3836bbb2, v27, v84 op_sel:[0,0,1] op_sel_hi:[1,1,0]
	v_pk_mul_f16 v87, 0xb8d2b461, v48
	v_add_f16_e32 v18, v49, v18
	v_lshrrev_b32_e32 v49, 16, v40
	v_pk_add_f16 v53, v6, v13
	v_lshrrev_b32_e32 v126, 16, v38
	v_add_f16_e32 v74, v52, v43
	v_pk_add_f16 v43, v13, v6 neg_lo:[0,1] neg_hi:[0,1]
	v_pk_fma_f16 v65, 0x3bb2ba62, v38, v87 op_sel:[0,0,1] op_sel_hi:[1,1,0]
	v_add_f16_e32 v18, v49, v18
	v_lshrrev_b32_e32 v49, 16, v64
	v_pk_mul_f16 v88, 0xbacd3722, v53
	v_pk_add_f16 v55, v9, v8
	v_mul_f16_e32 v73, 0xb5c8, v126
	v_lshrrev_b32_e32 v127, 16, v43
	v_pk_add_f16 v52, v8, v9 neg_lo:[0,1] neg_hi:[0,1]
	v_add_f16_e32 v18, v49, v18
	v_lshrrev_b32_e32 v49, 16, v65
	v_pk_fma_f16 v68, 0x3b29b836, v43, v88 op_sel:[0,0,1] op_sel_hi:[1,1,0]
	v_pk_mul_f16 v89, 0xbbdd3b76, v55
	v_fmamk_f16 v77, v48, 0x3b76, v73
	v_mul_f16_e32 v76, 0xbbf7, v127
	v_add_f16_e32 v18, v49, v18
	v_lshrrev_b32_e32 v49, 16, v68
	v_pk_fma_f16 v70, 0x35c8b1e1, v52, v89 op_sel:[0,0,1] op_sel_hi:[1,1,0]
	v_add_f16_e32 v77, v77, v74
	v_fmamk_f16 v79, v53, 0x2de8, v76
	v_lshrrev_b32_e32 v92, 16, v29
	v_add_f16_e32 v18, v49, v18
	v_lshrrev_b32_e32 v49, 16, v70
	v_mul_f16_e32 v78, 0x3836, v27
	v_mul_f16_e32 v100, 0x3964, v27
	v_add_f16_e32 v96, v79, v77
	v_mul_f16_e32 v77, 0xba62, v126
	v_add_f16_e32 v18, v49, v18
	v_fma_f16 v49, v92, 0xbacd, -v78
	v_fma_f16 v81, v92, 0x39e9, -v100
	v_lshrrev_b32_e32 v95, 16, v48
	v_mul_f16_e32 v79, 0x3bb2, v38
	v_mul_f16_e32 v97, 0xb5c8, v38
	v_add_f16_e32 v49, v49, v80
	v_fmamk_f16 v80, v48, 0xb8d2, v77
	v_add_f16_e32 v46, v81, v46
	v_pk_fma_f16 v81, 0xb964b5c8, v14, v17 op_sel:[0,0,1] op_sel_hi:[1,1,0] neg_lo:[0,1,0] neg_hi:[0,1,0]
	v_fma_f16 v83, v95, 0xb461, -v79
	v_fma_f16 v17, v95, 0x3b76, -v97
	v_add_f16_e32 v86, v80, v82
	v_pk_fma_f16 v82, 0x2de839e9, v20, v44 neg_lo:[0,0,1] neg_hi:[0,0,1]
	v_add_f16_e32 v44, v81, v34
	v_add_f16_e32 v49, v83, v49
	v_mul_f16_e32 v80, 0xb836, v127
	v_pk_fma_f16 v83, 0xba62bb29, v23, v45 op_sel:[0,0,1] op_sel_hi:[1,1,0] neg_lo:[0,1,0] neg_hi:[0,1,0]
	v_lshrrev_b32_e32 v98, 16, v53
	v_add_f16_e32 v44, v82, v44
	v_mul_f16_e32 v90, 0x3b29, v43
	v_mul_f16_e32 v101, 0xbbf7, v43
	v_fmamk_f16 v45, v53, 0xbacd, v80
	v_pk_fma_f16 v85, 0xb1e1bbf7, v25, v47 op_sel:[0,0,1] op_sel_hi:[1,1,0] neg_lo:[0,1,0] neg_hi:[0,1,0]
	v_add_f16_e32 v44, v83, v44
	v_add_f16_e32 v17, v17, v46
	v_fma_f16 v46, v98, 0x3722, -v90
	v_fma_f16 v47, v98, 0x2de8, -v101
	v_add_f16_e32 v45, v45, v86
	v_pk_fma_f16 v86, 0x3836bbb2, v27, v84 op_sel:[0,0,1] op_sel_hi:[1,1,0] neg_lo:[0,1,0] neg_hi:[0,1,0]
	v_add_f16_e32 v44, v85, v44
	v_lshrrev_b32_e32 v114, 16, v52
	v_add_f16_e32 v46, v46, v49
	v_add_f16_e32 v49, v47, v17
	v_pk_fma_f16 v87, 0x3bb2ba62, v38, v87 op_sel:[0,0,1] op_sel_hi:[1,1,0] neg_lo:[0,1,0] neg_hi:[0,1,0]
	v_add_f16_e32 v17, v86, v44
	v_mul_f16_e32 v74, 0xb836, v114
	v_mul_f16_e32 v84, 0xb1e1, v114
	v_lshrrev_b32_e32 v94, 16, v55
	v_mul_f16_e32 v91, 0x35c8, v52
	v_mul_f16_e32 v93, 0xb836, v52
	v_pk_fma_f16 v88, 0x3b29b836, v43, v88 op_sel:[0,0,1] op_sel_hi:[1,1,0] neg_lo:[0,1,0] neg_hi:[0,1,0]
	v_add_f16_e32 v17, v87, v17
	v_fmamk_f16 v99, v55, 0xbacd, v74
	v_fmamk_f16 v44, v55, 0xbbdd, v84
	v_fma_f16 v47, v94, 0x3b76, -v91
	v_fma_f16 v102, v94, 0xbacd, -v93
	v_pk_fma_f16 v89, 0x35c8b1e1, v52, v89 op_sel:[0,0,1] op_sel_hi:[1,1,0] neg_lo:[0,1,0] neg_hi:[0,1,0]
	v_add_f16_e32 v105, v88, v17
	v_add_f16_e32 v17, v99, v96
	;; [unrolled: 1-line block ×6, first 2 shown]
	v_mul_lo_u16 v44, v42, 17
	global_wb scope:SCOPE_SE
	s_barrier_signal -1
	s_barrier_wait -1
	global_inv scope:SCOPE_SE
	s_and_saveexec_b32 s4, vcc_lo
	s_cbranch_execz .LBB0_7
; %bb.6:
	v_mul_f16_e32 v115, 0x2de8, v59
	v_mul_f16_e32 v110, 0xbbdd, v20
	v_mul_f16_e32 v112, 0xbbf7, v104
	v_mul_f16_e32 v111, 0xb1e1, v103
	v_mul_f16_e32 v116, 0xb461, v63
	v_fmamk_f16 v96, v14, 0x3bf7, v115
	v_fmamk_f16 v102, v22, 0x31e1, v110
	;; [unrolled: 1-line block ×3, first 2 shown]
	v_mul_f16_e32 v113, 0x3bb2, v106
	v_mul_f16_e32 v121, 0x3b76, v69
	v_add_f16_e32 v96, v96, v34
	v_fmamk_f16 v105, v58, 0xbbdd, v111
	v_add_f16_e32 v99, v99, v4
	v_fmamk_f16 v108, v23, 0xbbb2, v116
	v_mul_f16_e32 v118, 0x35c8, v107
	v_add_f16_e32 v96, v102, v96
	v_mul_f16_e32 v125, 0x3722, v92
	v_fmamk_f16 v102, v24, 0xb461, v113
	v_add_f16_e32 v99, v105, v99
	v_fmamk_f16 v105, v25, 0xb5c8, v121
	v_add_f16_e32 v96, v108, v96
	v_mul_f16_e32 v119, 0xbb29, v109
	v_fmamk_f16 v108, v26, 0x3b76, v118
	v_add_f16_e32 v99, v102, v99
	v_fmamk_f16 v102, v27, 0x3b29, v125
	v_add_f16_e32 v96, v105, v96
	v_mul_f16_e32 v120, 0xbacd, v95
	v_fmamk_f16 v105, v29, 0x3722, v119
	v_add_f16_e32 v99, v108, v99
	v_mul_f16_e32 v122, 0xb836, v126
	v_add_f16_e32 v96, v102, v96
	v_fmamk_f16 v102, v38, 0x3836, v120
	v_mul_f16_e32 v117, 0xb8d2, v98
	v_add_f16_e32 v99, v105, v99
	v_fmamk_f16 v105, v48, 0xbacd, v122
	;; [unrolled: 3-line block ×3, first 2 shown]
	v_mul_f16_e64 v128, 0xb461, v59
	v_add_f16_e32 v99, v105, v99
	v_fmamk_f16 v105, v53, 0xb8d2, v124
	v_mul_f16_e32 v123, 0x39e9, v94
	v_add_f16_e32 v96, v102, v96
	v_fma_f16 v102, 0x3bb2, v14, v128
	v_mul_f16_e64 v129, 0xbacd, v20
	v_add_f16_e32 v99, v105, v99
	v_fmamk_f16 v105, v52, 0xb964, v123
	v_mul_f16_e64 v130, 0x3964, v114
	v_add_f16_e32 v102, v102, v34
	v_fma_f16 v108, 0xb836, v22, v129
	v_mul_f16_e64 v131, 0x39e9, v63
	v_add_f16_e32 v96, v105, v96
	v_fma_f16 v105, 0x39e9, v55, v130
	;; [unrolled: 3-line block ×7, first 2 shown]
	v_mul_f16_e64 v138, 0x2de8, v95
	v_add_f16_e64 v105, v136, v105
	v_fma_f16 v136, 0x39e9, v24, v137
	v_mul_f16_e64 v139, 0xbb29, v107
	v_add_f16_e32 v102, v108, v102
	v_fma_f16 v108, 0xbbf7, v38, v138
	v_mul_f16_e64 v140, 0x3b76, v98
	v_add_f16_e64 v105, v136, v105
	v_fma_f16 v136, 0x3722, v26, v139
	v_mul_f16_e64 v141, 0xb1e1, v109
	v_add_f16_e32 v102, v108, v102
	v_fma_f16 v108, 0x35c8, v43, v140
	;; [unrolled: 6-line block ×5, first 2 shown]
	v_mul_f16_e64 v149, 0x3b76, v63
	v_add_f16_e64 v105, v136, v105
	v_fma_f16 v136, 0xb8d2, v55, v147
	v_mul_f16_e64 v150, 0xba62, v104
	v_add_f16_e64 v108, v148, v108
	v_fma_f16 v148, 0x35c8, v23, v149
	;; [unrolled: 3-line block ×18, first 2 shown]
	v_mul_f16_e64 v168, 0xb836, v104
	v_add_f16_e64 v104, v154, v136
	v_mul_f16_e64 v154, 0x3b29, v103
	v_mul_f16_e64 v171, 0xbbdd, v95
	v_add_f16_e64 v103, v166, v148
	v_fma_f16 v148, 0xba62, v25, v169
	v_mul_f16_e64 v166, 0x3b76, v92
	v_mul_f16_e64 v172, 0x39e9, v98
	;; [unrolled: 1-line block ×3, first 2 shown]
	v_fma_f16 v136, 0xbacd, v21, v168
	v_add_f16_e64 v103, v148, v103
	v_fma_f16 v148, 0x35c8, v27, v166
	v_fma_f16 v170, 0x3722, v58, v154
	v_mul_f16_e32 v106, 0xbbf7, v106
	v_add_f16_e64 v136, v136, v4
	v_fma_f16 v154, v58, 0x3722, -v154
	v_add_f16_e64 v103, v148, v103
	v_fma_f16 v148, 0x31e1, v38, v171
	v_mul_f16_e32 v107, 0x3a62, v107
	v_add_f16_e64 v136, v170, v136
	v_fma_f16 v170, 0x2de8, v24, v106
	v_fma_f16 v106, v24, 0x2de8, -v106
	v_add_f16_e64 v103, v148, v103
	v_fma_f16 v148, 0xb964, v43, v172
	v_mul_f16_e32 v109, 0xb5c8, v109
	v_add_f16_e64 v136, v170, v136
	v_fma_f16 v170, 0xb8d2, v26, v107
	;; [unrolled: 6-line block ×3, first 2 shown]
	v_fmac_f16_e64 v162, 0xb836, v14
	v_add_f16_e64 v103, v148, v103
	v_fma_f16 v148, v21, 0xbacd, -v168
	v_fmac_f16_e64 v164, 0x3b29, v22
	v_add_f16_e64 v136, v170, v136
	v_fma_f16 v170, 0xbbdd, v48, v126
	v_add_f16_e64 v162, v162, v34
	v_add_f16_e64 v148, v148, v4
	v_mul_f16_e32 v127, 0x3964, v127
	v_mul_f16_e32 v114, 0xbbb2, v114
	v_add_f16_e64 v136, v170, v136
	v_add_f16_e64 v162, v164, v162
	;; [unrolled: 1-line block ×3, first 2 shown]
	v_fma_f16 v164, 0x39e9, v53, v127
	v_fmac_f16_e64 v128, 0xbbb2, v14
	v_fmac_f16_e64 v129, 0x3836, v22
	v_fmac_f16_e32 v115, 0xbbf7, v14
	v_add_f16_e64 v106, v106, v148
	v_add_f16_e64 v136, v164, v136
	v_fma_f16 v164, 0xb461, v55, v114
	v_fmac_f16_e32 v110, 0xb1e1, v22
	v_add_f16_e32 v115, v115, v34
	v_add_f16_e32 v106, v107, v106
	v_fma_f16 v107, v29, 0x3b76, -v109
	v_fma_f16 v112, v21, 0x2de8, -v112
	;; [unrolled: 1-line block ×3, first 2 shown]
	v_add_f16_e32 v110, v110, v115
	v_fma_f16 v115, v53, 0x3b76, -v145
	v_add_f16_e32 v106, v107, v106
	v_fma_f16 v107, v48, 0xbbdd, -v126
	v_add_f16_e32 v112, v112, v4
	v_fmac_f16_e32 v116, 0x3bb2, v23
	v_fmac_f16_e32 v121, 0x35c8, v25
	v_alignbit_b32 v35, v35, v35, 16
	v_add_f16_e32 v106, v107, v106
	v_fma_f16 v107, v53, 0x39e9, -v127
	v_fma_f16 v127, v21, 0xb8d2, -v150
	v_add_f16_e32 v111, v111, v112
	v_fma_f16 v112, v24, 0xb461, -v113
	v_add_f16_e32 v110, v116, v110
	v_add_f16_e32 v106, v107, v106
	v_fma_f16 v107, v55, 0xb461, -v114
	v_add_f16_e32 v114, v127, v4
	v_fma_f16 v127, v58, 0xb461, -v152
	;; [unrolled: 2-line block ×3, first 2 shown]
	v_add_f16_e32 v106, v107, v106
	v_add_f16_e32 v110, v121, v110
	;; [unrolled: 1-line block ×3, first 2 shown]
	v_fma_f16 v114, v24, 0x3b76, -v155
	v_add_f16_e64 v127, v128, v34
	v_fma_f16 v128, v21, 0xb461, -v132
	v_fmac_f16_e32 v125, 0xbb29, v27
	v_add_f16_e32 v111, v112, v111
	v_add_f16_e32 v107, v114, v107
	v_fma_f16 v114, v26, 0xbacd, -v157
	v_add_f16_e64 v127, v129, v127
	v_add_f16_e64 v128, v128, v4
	v_fma_f16 v129, v58, 0xbacd, -v134
	v_fma_f16 v112, v29, 0x3722, -v119
	v_add_f16_e32 v107, v114, v107
	v_fma_f16 v114, v29, 0x2de8, -v159
	v_add_f16_e32 v110, v125, v110
	v_add_f16_e64 v128, v129, v128
	v_fma_f16 v129, v24, 0x39e9, -v137
	v_fmac_f16_e32 v120, 0xb836, v38
	v_add_f16_e32 v107, v114, v107
	v_fma_f16 v114, v48, 0x39e9, -v161
	v_add_f16_e32 v111, v112, v111
	v_add_f16_e64 v128, v129, v128
	v_fma_f16 v129, v26, 0x3722, -v139
	v_fma_f16 v112, v48, 0xbacd, -v122
	v_add_f16_e32 v107, v114, v107
	v_fma_f16 v114, v53, 0xbbdd, -v163
	v_add_f16_e32 v110, v120, v110
	v_fmac_f16_e32 v117, 0x3a62, v43
	v_add_f16_e32 v111, v112, v111
	v_fma_f16 v112, v53, 0xb8d2, -v124
	v_add_f16_e32 v107, v114, v107
	v_fma_f16 v114, v55, 0x3722, -v165
	v_fmac_f16_e64 v144, 0xba62, v14
	v_fmac_f16_e64 v146, 0x3bb2, v22
	;; [unrolled: 1-line block ×4, first 2 shown]
	v_add_f16_e32 v107, v114, v107
	v_add_f16_e64 v114, v129, v128
	v_fma_f16 v128, v29, 0xbbdd, -v141
	v_add_f16_e64 v144, v144, v34
	v_fmac_f16_e64 v131, 0x3964, v23
	v_add_f16_e64 v162, v167, v162
	v_fmac_f16_e64 v169, 0x3a62, v25
	v_add_f16_e64 v114, v128, v114
	v_fma_f16 v128, v48, 0x2de8, -v143
	v_add_f16_e64 v144, v146, v144
	v_fmac_f16_e64 v151, 0xb836, v25
	v_add_f16_e64 v127, v131, v127
	v_fmac_f16_e64 v133, 0xbb29, v25
	v_add_f16_e64 v114, v128, v114
	v_add_f16_e64 v126, v149, v144
	;; [unrolled: 1-line block ×3, first 2 shown]
	v_fmac_f16_e64 v166, 0xb5c8, v27
	v_fmac_f16_e64 v153, 0x3bf7, v27
	v_add_f16_e32 v114, v115, v114
	v_fma_f16 v115, v55, 0xb8d2, -v147
	v_add_f16_e64 v126, v151, v126
	v_add_f16_e64 v127, v133, v127
	v_fmac_f16_e64 v135, 0xb1e1, v27
	v_add_f16_e64 v148, v166, v154
	v_add_f16_e32 v113, v115, v114
	v_mul_f16_e32 v114, 0x3722, v59
	v_mul_f16_e32 v115, 0xb8d2, v20
	;; [unrolled: 1-line block ×3, first 2 shown]
	v_fmac_f16_e64 v171, 0xb1e1, v38
	v_add_f16_e64 v126, v153, v126
	v_add_f16_e32 v61, v61, v114
	v_add_f16_e32 v66, v66, v115
	v_mul_f16_e32 v114, 0xbbdd, v63
	v_add_f16_e32 v39, v39, v59
	v_mul_f16_e32 v63, 0xb8d2, v63
	;; [unrolled: 2-line block ×3, first 2 shown]
	v_fmac_f16_e64 v156, 0xb964, v38
	v_add_f16_e32 v34, v39, v34
	v_mul_f16_e32 v39, 0x3b76, v94
	v_add_f16_e32 v61, v66, v61
	v_add_f16_e32 v66, v71, v114
	v_mul_f16_e32 v71, 0xb461, v69
	v_mul_f16_e32 v114, 0x39e9, v58
	;; [unrolled: 1-line block ×4, first 2 shown]
	v_add_f16_e32 v61, v66, v61
	v_add_f16_e32 v66, v75, v71
	v_alignbit_b32 v75, v4, v4, 16
	v_add_f16_e32 v71, v117, v110
	v_add_f16_e32 v110, v112, v111
	v_mul_f16_e32 v111, 0x39e9, v92
	v_fma_f16 v112, v55, 0x39e9, -v130
	v_pk_add_f16 v5, v5, v75 op_sel:[0,1] op_sel_hi:[1,0]
	v_add_f16_e32 v61, v66, v61
	v_mul_f16_e32 v66, 0x3b76, v21
	v_add_f16_e32 v100, v100, v111
	v_mul_f16_e32 v111, 0x3722, v21
	v_pk_add_f16 v5, v35, v5
	v_add_f16_e32 v110, v112, v110
	v_mul_f16_e32 v112, 0x2de8, v20
	v_add_f16_e32 v61, v100, v61
	v_sub_f16_e32 v56, v111, v56
	v_pk_add_f16 v5, v15, v5
	v_mul_f16_e32 v100, 0x3b76, v95
	v_add_f16_e32 v54, v54, v112
	v_mul_f16_e32 v111, 0x3722, v24
	v_add_f16_e32 v56, v56, v4
	v_pk_add_f16 v5, v10, v5
	v_sub_f16_e32 v10, v66, v30
	v_add_f16_e32 v34, v54, v34
	v_add_f16_e32 v35, v50, v63
	;; [unrolled: 1-line block ×3, first 2 shown]
	v_pk_add_f16 v5, v11, v5
	v_add_f16_e32 v4, v10, v4
	v_sub_f16_e32 v10, v114, v31
	v_mul_f16_e32 v100, 0xbbdd, v24
	v_sub_f16_e32 v58, v58, v60
	v_pk_add_f16 v5, v12, v5
	v_mul_f16_e32 v60, 0x2de8, v26
	v_mul_f16_e32 v92, 0xbacd, v92
	v_add_f16_e32 v15, v35, v34
	v_add_f16_e32 v34, v57, v69
	v_pk_add_f16 v5, v13, v5
	v_add_f16_e32 v4, v10, v4
	v_sub_f16_e32 v10, v111, v33
	v_add_f16_e32 v56, v58, v56
	v_sub_f16_e32 v62, v100, v62
	v_pk_add_f16 v5, v8, v5
	v_mul_f16_e32 v100, 0xb461, v29
	v_mul_f16_e32 v95, 0xb461, v95
	v_add_f16_e32 v15, v34, v15
	v_add_f16_e32 v30, v78, v92
	v_pk_add_f16 v5, v9, v5
	v_add_f16_e32 v4, v10, v4
	v_sub_f16_e32 v10, v60, v37
	v_add_f16_e32 v61, v97, v61
	v_mul_f16_e32 v97, 0x2de8, v98
	v_pk_add_f16 v5, v6, v5
	v_mul_f16_e32 v58, 0xb461, v26
	v_add_f16_e32 v56, v62, v56
	v_mul_f16_e32 v62, 0xb8d2, v48
	v_mul_f16_e32 v98, 0x3722, v98
	v_add_f16_e32 v11, v30, v15
	v_add_f16_e32 v15, v79, v95
	;; [unrolled: 1-line block ×3, first 2 shown]
	v_sub_f16_e32 v9, v100, v51
	v_pk_add_f16 v5, v7, v5
	v_sub_f16_e32 v58, v58, v67
	v_add_f16_e32 v11, v15, v11
	v_add_f16_e32 v13, v90, v98
	;; [unrolled: 1-line block ×3, first 2 shown]
	v_sub_f16_e32 v6, v62, v77
	v_pk_add_f16 v2, v2, v5
	v_add_f16_e32 v97, v101, v97
	v_mul_f16_e32 v101, 0x39e9, v29
	v_add_f16_e32 v56, v58, v56
	v_mul_f16_e32 v58, 0xbbdd, v55
	v_add_f16_e32 v8, v13, v11
	v_add_f16_e32 v11, v91, v39
	v_bfi_b32 v10, 0xffff, v28, v81
	v_add_f16_e32 v4, v6, v4
	v_sub_f16_e32 v6, v59, v80
	v_pk_add_f16 v2, v3, v2
	v_mul_f16_e32 v67, 0x3b76, v48
	v_mul_f16_e32 v94, 0xbacd, v94
	v_sub_f16_e32 v72, v101, v72
	v_add_f16_e32 v8, v11, v8
	v_bfi_b32 v11, 0xffff, v32, v82
	v_add_f16_e32 v4, v6, v4
	v_sub_f16_e32 v6, v58, v84
	v_and_b32_e32 v3, 0xffff, v44
	v_pk_add_f16 v10, v10, v75
	v_pk_mul_f16 v21, 0xbbdd, v21 op_sel_hi:[0,1]
	v_pk_add_f16 v0, v0, v2
	v_add_f16_e32 v61, v97, v61
	v_mul_f16_e32 v97, 0x2de8, v53
	v_add_f16_e32 v50, v93, v94
	v_add_f16_e32 v54, v72, v56
	v_sub_f16_e32 v56, v67, v73
	v_bfi_b32 v9, 0xffff, v36, v83
	v_add_f16_e32 v4, v6, v4
	v_lshlrev_b32_e32 v2, 2, v3
	v_pk_add_f16 v3, v11, v10
	v_pk_fma_f16 v6, 0xb1e1, v14, v21 op_sel:[0,0,1] op_sel_hi:[0,1,0] neg_lo:[0,1,0] neg_hi:[0,1,0]
	v_pk_mul_f16 v10, 0x35c8, v22 op_sel_hi:[0,1]
	v_pk_add_f16 v0, v1, v0
	v_pk_fma_f16 v1, 0xb1e1, v14, v21 op_sel:[0,0,1] op_sel_hi:[0,1,0]
	v_mul_f16_e32 v101, 0xbacd, v55
	v_add_f16_e32 v35, v50, v61
	v_add_f16_e32 v50, v56, v54
	v_sub_f16_e32 v34, v97, v76
	v_bfi_b32 v13, 0xffff, v40, v85
	v_pk_add_f16 v3, v9, v3
	v_pk_add_f16 v6, v6, v75
	v_pk_fma_f16 v9, 0x3b76, v20, v10 op_sel_hi:[0,1,1] neg_lo:[0,0,1] neg_hi:[0,0,1]
	v_pk_mul_f16 v11, 0xbacd, v24 op_sel_hi:[0,1]
	v_pk_add_f16 v1, v1, v75
	v_pk_fma_f16 v10, 0x3b76, v20, v10 op_sel_hi:[0,1,1]
	v_add_f16_e32 v12, v34, v50
	v_sub_f16_e32 v15, v101, v74
	v_bfi_b32 v7, 0xffff, v64, v86
	v_pk_add_f16 v3, v13, v3
	v_pk_add_f16 v6, v9, v6
	v_pk_fma_f16 v9, 0xb836, v23, v11 op_sel:[0,0,1] op_sel_hi:[0,1,0] neg_lo:[0,1,0] neg_hi:[0,1,0]
	v_pk_mul_f16 v13, 0x39e9, v26 op_sel_hi:[0,1]
	v_pk_add_f16 v1, v10, v1
	v_pk_fma_f16 v10, 0xb836, v23, v11 op_sel:[0,0,1] op_sel_hi:[0,1,0]
	v_add_f16_e32 v12, v15, v12
	v_bfi_b32 v15, 0xffff, v65, v87
	v_pk_add_f16 v3, v7, v3
	v_pk_add_f16 v6, v9, v6
	v_pk_fma_f16 v7, 0x3964, v25, v13 op_sel:[0,0,1] op_sel_hi:[0,1,0] neg_lo:[0,1,0] neg_hi:[0,1,0]
	v_pk_mul_f16 v9, 0xb8d2, v29 op_sel_hi:[0,1]
	v_pk_add_f16 v1, v10, v1
	v_pk_fma_f16 v10, 0x3964, v25, v13 op_sel:[0,0,1] op_sel_hi:[0,1,0]
	v_bfi_b32 v5, 0xffff, v68, v88
	v_pk_add_f16 v3, v15, v3
	v_pk_add_f16 v6, v7, v6
	v_pk_fma_f16 v7, 0xba62, v27, v9 op_sel:[0,0,1] op_sel_hi:[0,1,0] neg_lo:[0,1,0] neg_hi:[0,1,0]
	v_pk_mul_f16 v11, 0x3722, v48 op_sel_hi:[0,1]
	v_pk_add_f16 v1, v10, v1
	v_pk_fma_f16 v9, 0xba62, v27, v9 op_sel:[0,0,1] op_sel_hi:[0,1,0]
	v_add_f16_e64 v127, v135, v127
	v_fmac_f16_e64 v138, 0x3bf7, v38
	v_add_f16_e64 v109, v171, v148
	v_fmac_f16_e64 v172, 0x3964, v43
	v_pk_add_f16 v3, v5, v3
	v_pk_add_f16 v5, v7, v6
	v_pk_fma_f16 v6, 0x3b29, v38, v11 op_sel:[0,0,1] op_sel_hi:[0,1,0] neg_lo:[0,1,0] neg_hi:[0,1,0]
	v_pk_mul_f16 v7, 0xb461, v53 op_sel_hi:[0,1]
	v_pk_add_f16 v1, v9, v1
	v_pk_fma_f16 v9, 0x3b29, v38, v11 op_sel:[0,0,1] op_sel_hi:[0,1,0]
	v_add_f16_e64 v126, v156, v126
	v_fmac_f16_e64 v158, 0xb1e1, v43
	v_add_f16_e64 v127, v138, v127
	v_fmac_f16_e64 v140, 0xb5c8, v43
	;; [unrolled: 2-line block ×3, first 2 shown]
	v_pk_add_f16 v5, v6, v5
	v_pk_fma_f16 v6, 0xbbb2, v43, v7 op_sel:[0,0,1] op_sel_hi:[0,1,0] neg_lo:[0,1,0] neg_hi:[0,1,0]
	v_pk_mul_f16 v10, 0x2de8, v55 op_sel_hi:[0,1]
	v_pk_add_f16 v1, v9, v1
	v_pk_fma_f16 v7, 0xbbb2, v43, v7 op_sel:[0,0,1] op_sel_hi:[0,1,0]
	v_bfi_b32 v28, 0xffff, v70, v89
	v_fmac_f16_e32 v123, 0x3964, v52
	v_add_f16_e64 v126, v158, v126
	v_fmac_f16_e64 v160, 0x3b29, v52
	v_add_f16_e64 v127, v140, v127
	v_fmac_f16_e64 v142, 0xba62, v52
	v_add_f16_e64 v109, v173, v109
	v_pk_add_f16 v5, v6, v5
	v_pk_fma_f16 v6, 0x3bf7, v52, v10 op_sel:[0,0,1] op_sel_hi:[0,1,0] neg_lo:[0,1,0] neg_hi:[0,1,0]
	v_pk_add_f16 v1, v7, v1
	v_pk_fma_f16 v7, 0x3bf7, v52, v10 op_sel:[0,0,1] op_sel_hi:[0,1,0]
	v_pk_add_f16 v3, v28, v3
	v_add_f16_e32 v71, v123, v71
	v_add_f16_e64 v126, v160, v126
	v_add_f16_e64 v127, v142, v127
	v_pk_add_f16 v0, v19, v0
	v_pack_b32_f16 v9, v106, v109
	v_pk_add_f16 v5, v6, v5
	v_pk_add_f16 v1, v7, v1
	v_add_f16_e64 v136, v164, v136
	v_alignbit_b32 v8, v8, v3, 16
	v_pack_b32_f16 v3, v4, v3
	v_pack_b32_f16 v4, v12, v35
	;; [unrolled: 1-line block ×5, first 2 shown]
	ds_store_2addr_b32 v2, v0, v9 offset1:7
	v_alignbit_b32 v0, v5, v1, 16
	v_alignbit_b32 v1, v1, v5, 16
	v_pack_b32_f16 v5, v104, v108
	v_pack_b32_f16 v9, v136, v103
	;; [unrolled: 1-line block ×4, first 2 shown]
	v_perm_b32 v13, v47, v18, 0x5040100
	v_perm_b32 v14, v49, v17, 0x5040100
	;; [unrolled: 1-line block ×3, first 2 shown]
	ds_store_2addr_b32 v2, v3, v8 offset0:1 offset1:2
	ds_store_2addr_b32 v2, v4, v6 offset0:3 offset1:4
	;; [unrolled: 1-line block ×7, first 2 shown]
	ds_store_b32 v2, v15 offset:64
.LBB0_7:
	s_wait_alu 0xfffe
	s_or_b32 exec_lo, exec_lo, s4
	v_add_nc_u16 v14, v42, 0x77
	v_and_b32_e32 v0, 0xff, v42
	v_add_co_u32 v3, null, 0x1dc, v42
	v_add_co_u32 v6, null, 0x253, v42
	s_delay_alu instid0(VALU_DEP_4) | instskip(NEXT) | instid1(VALU_DEP_4)
	v_and_b32_e32 v1, 0xff, v14
	v_mul_lo_u16 v2, 0xf1, v0
	v_add_co_u32 v0, null, 0xee, v42
	v_add_co_u32 v7, null, 0x2ca, v42
	s_delay_alu instid0(VALU_DEP_4) | instskip(NEXT) | instid1(VALU_DEP_4)
	v_mul_lo_u16 v10, 0xf1, v1
	v_lshrrev_b16 v12, 12, v2
	v_add_co_u32 v1, null, 0x165, v42
	v_and_b32_e32 v8, 0xffff, v0
	s_delay_alu instid0(VALU_DEP_4) | instskip(NEXT) | instid1(VALU_DEP_4)
	v_lshrrev_b16 v13, 12, v10
	v_mul_lo_u16 v4, v12, 17
	s_delay_alu instid0(VALU_DEP_4)
	v_and_b32_e32 v9, 0xffff, v1
	v_and_b32_e32 v11, 0xffff, v3
	v_mul_u32_u24_e32 v8, 0xf0f1, v8
	v_mul_lo_u16 v5, v13, 17
	v_sub_nc_u16 v4, v42, v4
	v_mul_u32_u24_e32 v9, 0xf0f1, v9
	v_mul_u32_u24_e32 v11, 0xf0f1, v11
	v_lshrrev_b32_e32 v22, 20, v8
	v_sub_nc_u16 v5, v14, v5
	v_and_b32_e32 v15, 0xff, v4
	v_and_b32_e32 v4, 0xffff, v6
	v_lshrrev_b32_e32 v23, 20, v9
	v_lshrrev_b32_e32 v24, 20, v11
	v_and_b32_e32 v19, 0xff, v5
	v_and_b32_e32 v5, 0xffff, v7
	v_mul_u32_u24_e32 v4, 0xf0f1, v4
	v_lshlrev_b32_e32 v20, 2, v15
	v_mul_lo_u16 v8, v24, 17
	s_load_b128 s[4:7], s[2:3], 0x0
	v_mul_u32_u24_e32 v5, 0xf0f1, v5
	v_lshrrev_b32_e32 v25, 20, v4
	v_mul_lo_u16 v4, v22, 17
	v_sub_nc_u16 v29, v3, v8
	global_wb scope:SCOPE_SE
	s_wait_dscnt 0x0
	v_lshrrev_b32_e32 v26, 20, v5
	v_mul_lo_u16 v5, v23, 17
	v_mul_lo_u16 v9, v25, 17
	v_sub_nc_u16 v27, v0, v4
	s_wait_kmcnt 0x0
	s_barrier_signal -1
	v_mul_lo_u16 v0, v26, 17
	v_sub_nc_u16 v28, v1, v5
	v_sub_nc_u16 v30, v6, v9
	s_barrier_wait -1
	global_inv scope:SCOPE_SE
	v_sub_nc_u16 v31, v7, v0
	v_and_b32_e32 v1, 0xffff, v27
	global_load_b32 v56, v20, s[0:1]
	v_and_b32_e32 v0, 0xffff, v28
	v_and_b32_e32 v3, 0xffff, v29
	;; [unrolled: 1-line block ×3, first 2 shown]
	v_lshlrev_b32_e32 v21, 2, v19
	v_and_b32_e32 v5, 0xffff, v31
	v_lshlrev_b32_e32 v1, 2, v1
	v_lshlrev_b32_e32 v0, 2, v0
	;; [unrolled: 1-line block ×5, first 2 shown]
	s_clause 0x5
	global_load_b32 v55, v21, s[0:1]
	global_load_b32 v54, v1, s[0:1]
	global_load_b32 v53, v0, s[0:1]
	global_load_b32 v52, v3, s[0:1]
	global_load_b32 v51, v4, s[0:1]
	global_load_b32 v50, v5, s[0:1]
	v_and_b32_e32 v0, 0xffff, v42
	v_lshrrev_b16 v32, 13, v2
	v_mul_lo_u16 v21, v12, 34
	v_and_b32_e32 v34, 0xffff, v13
	v_lshrrev_b16 v33, 13, v10
	v_lshlrev_b32_e32 v48, 2, v0
	v_mul_lo_u16 v20, v32, 34
	v_and_b32_e32 v21, 0xfe, v21
	v_mul_u32_u24_e32 v34, 34, v34
	v_mul_lo_u16 v35, v33, 34
	v_add_nc_u32_e32 v111, 0xa00, v48
	v_add_nc_u32_e32 v112, 0xe00, v48
	;; [unrolled: 1-line block ×4, first 2 shown]
	ds_load_2addr_b32 v[0:1], v48 offset1:119
	ds_load_2addr_b32 v[2:3], v111 offset0:74 offset1:193
	ds_load_2addr_b32 v[4:5], v112 offset0:56 offset1:175
	;; [unrolled: 1-line block ×4, first 2 shown]
	v_add_nc_u32_e32 v114, 0x1600, v48
	v_add_nc_u32_e32 v116, 0x600, v48
	v_add_lshl_u32 v57, v21, v15, 2
	v_mad_u16 v21, v22, 34, v27
	v_mad_u16 v22, v23, 34, v28
	ds_load_2addr_b32 v[12:13], v114 offset0:20 offset1:139
	ds_load_2addr_b32 v[10:11], v116 offset0:92 offset1:211
	v_mad_u16 v23, v24, 34, v29
	v_mad_u16 v24, v25, 34, v30
	;; [unrolled: 1-line block ×3, first 2 shown]
	v_and_b32_e32 v21, 0xffff, v21
	v_and_b32_e32 v22, 0xffff, v22
	v_sub_nc_u16 v20, v42, v20
	v_and_b32_e32 v23, 0xffff, v23
	v_and_b32_e32 v24, 0xffff, v24
	v_lshlrev_b32_e32 v58, 2, v21
	s_wait_dscnt 0x5
	v_lshrrev_b32_e32 v26, 16, v3
	s_wait_dscnt 0x4
	v_lshrrev_b32_e32 v27, 16, v4
	v_lshlrev_b32_e32 v59, 2, v22
	v_lshrrev_b32_e32 v29, 16, v5
	v_and_b32_e32 v25, 0xffff, v25
	s_wait_dscnt 0x2
	v_lshrrev_b32_e32 v38, 16, v8
	v_lshrrev_b32_e32 v40, 16, v9
	v_and_b32_e32 v36, 0xff, v20
	v_sub_nc_u16 v20, v14, v35
	s_wait_dscnt 0x1
	v_lshrrev_b32_e32 v64, 16, v12
	v_lshrrev_b32_e32 v73, 16, v13
	;; [unrolled: 1-line block ×3, first 2 shown]
	v_lshlrev_b32_e32 v60, 2, v23
	v_lshlrev_b32_e32 v61, 2, v24
	;; [unrolled: 1-line block ×3, first 2 shown]
	v_add_lshl_u32 v63, v34, v19, 2
	v_lshrrev_b32_e32 v37, 16, v1
	v_lshrrev_b32_e32 v28, 16, v6
	;; [unrolled: 1-line block ×3, first 2 shown]
	s_wait_dscnt 0x0
	v_lshrrev_b32_e32 v39, 16, v10
	v_lshrrev_b32_e32 v43, 16, v11
	;; [unrolled: 1-line block ×3, first 2 shown]
	v_and_b32_e32 v31, 0xff, v20
	v_mad_co_u64_u32 v[14:15], null, v36, 24, s[0:1]
	global_wb scope:SCOPE_SE
	s_wait_loadcnt 0x0
	s_barrier_signal -1
	v_mad_co_u64_u32 v[19:20], null, v31, 24, s[0:1]
	s_barrier_wait -1
	global_inv scope:SCOPE_SE
	v_lshrrev_b32_e32 v72, 16, v56
	s_delay_alu instid0(VALU_DEP_1)
	v_mul_f16_e32 v21, v26, v72
	v_mul_f16_e32 v22, v3, v72
	v_lshrrev_b32_e32 v71, 16, v55
	v_lshrrev_b32_e32 v70, 16, v54
	;; [unrolled: 1-line block ×6, first 2 shown]
	v_fma_f16 v3, v3, v56, -v21
	v_fmac_f16_e32 v22, v26, v56
	v_mul_f16_e32 v21, v27, v71
	v_mul_f16_e32 v23, v4, v71
	;; [unrolled: 1-line block ×12, first 2 shown]
	v_fma_f16 v4, v4, v55, -v21
	v_fmac_f16_e32 v23, v27, v55
	v_sub_f16_e32 v3, v0, v3
	v_sub_f16_e32 v21, v35, v22
	v_fma_f16 v5, v5, v54, -v24
	v_fmac_f16_e32 v25, v29, v54
	v_fma_f16 v8, v8, v53, -v26
	v_fmac_f16_e32 v34, v38, v53
	;; [unrolled: 2-line block ×5, first 2 shown]
	v_fma_f16 v0, v0, 2.0, -v3
	v_fma_f16 v22, v35, 2.0, -v21
	v_sub_f16_e32 v4, v1, v4
	v_sub_f16_e32 v23, v37, v23
	;; [unrolled: 1-line block ×12, first 2 shown]
	v_pack_b32_f16 v3, v3, v21
	v_fma_f16 v1, v1, 2.0, -v4
	v_fma_f16 v21, v37, 2.0, -v23
	v_pack_b32_f16 v0, v0, v22
	v_fma_f16 v6, v6, 2.0, -v5
	v_fma_f16 v28, v28, 2.0, -v24
	;; [unrolled: 1-line block ×10, first 2 shown]
	v_pack_b32_f16 v4, v4, v23
	ds_store_2addr_b32 v57, v0, v3 offset1:17
	v_pack_b32_f16 v0, v1, v21
	v_pack_b32_f16 v5, v5, v24
	;; [unrolled: 1-line block ×11, first 2 shown]
	ds_store_2addr_b32 v63, v0, v4 offset1:17
	ds_store_2addr_b32 v58, v1, v5 offset1:17
	;; [unrolled: 1-line block ×6, first 2 shown]
	global_wb scope:SCOPE_SE
	s_wait_dscnt 0x0
	s_barrier_signal -1
	s_barrier_wait -1
	global_inv scope:SCOPE_SE
	s_clause 0x3
	global_load_b128 v[4:7], v[14:15], off offset:68
	global_load_b64 v[21:22], v[14:15], off offset:84
	global_load_b128 v[0:3], v[19:20], off offset:68
	global_load_b64 v[19:20], v[19:20], off offset:84
	ds_load_2addr_b32 v[8:9], v48 offset1:119
	ds_load_2addr_b32 v[10:11], v115 offset0:110 offset1:229
	ds_load_2addr_b32 v[12:13], v116 offset0:92 offset1:211
	;; [unrolled: 1-line block ×6, first 2 shown]
	v_and_b32_e32 v29, 0xffff, v32
	v_and_b32_e32 v30, 0xffff, v33
	global_wb scope:SCOPE_SE
	s_wait_loadcnt_dscnt 0x0
	s_barrier_signal -1
	s_barrier_wait -1
	v_mul_u32_u24_e32 v32, 0xee, v29
	v_mul_u32_u24_e32 v33, 0xee, v30
	v_mad_co_u64_u32 v[29:30], null, v42, 24, s[0:1]
	global_inv scope:SCOPE_SE
	v_add_lshl_u32 v65, v32, v36, 2
	v_add_lshl_u32 v64, v33, v31, 2
	v_lshrrev_b32_e32 v31, 16, v8
	v_lshrrev_b32_e32 v32, 16, v10
	;; [unrolled: 1-line block ×26, first 2 shown]
	v_mul_f16_e32 v88, v32, v84
	v_mul_f16_e32 v89, v10, v84
	;; [unrolled: 1-line block ×24, first 2 shown]
	v_fma_f16 v10, v10, v4, -v88
	v_fmac_f16_e32 v89, v32, v4
	v_fma_f16 v12, v12, v5, -v90
	v_fmac_f16_e32 v91, v33, v5
	v_fma_f16 v25, v25, v21, -v96
	v_fmac_f16_e32 v97, v36, v21
	v_fma_f16 v27, v27, v22, -v98
	v_fmac_f16_e32 v99, v37, v22
	v_fma_f16 v14, v14, v6, -v92
	v_fmac_f16_e32 v93, v34, v6
	v_fma_f16 v23, v23, v7, -v94
	v_fmac_f16_e32 v95, v35, v7
	v_fma_f16 v11, v11, v0, -v100
	v_fmac_f16_e32 v101, v39, v0
	v_fma_f16 v13, v13, v1, -v102
	v_fmac_f16_e32 v103, v40, v1
	v_fma_f16 v26, v26, v19, -v108
	v_fmac_f16_e32 v109, v86, v19
	v_fma_f16 v28, v28, v20, -v110
	v_fmac_f16_e32 v117, v87, v20
	v_fma_f16 v15, v15, v2, -v104
	v_fmac_f16_e32 v105, v43, v2
	v_fma_f16 v24, v24, v3, -v106
	v_fmac_f16_e32 v107, v85, v3
	v_add_f16_e32 v32, v10, v27
	v_add_f16_e32 v33, v89, v99
	;; [unrolled: 1-line block ×4, first 2 shown]
	v_sub_f16_e32 v10, v10, v27
	v_sub_f16_e32 v27, v89, v99
	;; [unrolled: 1-line block ×4, first 2 shown]
	v_add_f16_e32 v36, v14, v23
	v_add_f16_e32 v37, v93, v95
	v_sub_f16_e32 v14, v23, v14
	v_sub_f16_e32 v23, v95, v93
	v_add_f16_e32 v39, v11, v28
	v_add_f16_e32 v40, v101, v117
	;; [unrolled: 1-line block ×4, first 2 shown]
	v_sub_f16_e32 v11, v11, v28
	v_sub_f16_e32 v28, v101, v117
	;; [unrolled: 1-line block ×4, first 2 shown]
	v_add_f16_e32 v86, v15, v24
	v_sub_f16_e32 v15, v24, v15
	v_sub_f16_e32 v24, v107, v105
	v_add_f16_e32 v88, v34, v32
	v_add_f16_e32 v89, v35, v33
	v_add_f16_e32 v87, v105, v107
	v_sub_f16_e32 v90, v34, v32
	v_sub_f16_e32 v91, v35, v33
	;; [unrolled: 1-line block ×6, first 2 shown]
	v_add_f16_e32 v92, v14, v12
	v_add_f16_e32 v93, v23, v25
	v_sub_f16_e32 v94, v14, v12
	v_sub_f16_e32 v95, v23, v25
	;; [unrolled: 1-line block ×4, first 2 shown]
	v_add_f16_e32 v96, v43, v39
	v_add_f16_e32 v97, v85, v40
	v_add_f16_e32 v100, v15, v13
	v_add_f16_e32 v101, v24, v26
	v_sub_f16_e32 v102, v15, v13
	v_sub_f16_e32 v103, v24, v26
	;; [unrolled: 1-line block ×4, first 2 shown]
	v_add_f16_e32 v36, v36, v88
	v_add_f16_e32 v37, v37, v89
	v_sub_f16_e32 v14, v10, v14
	v_sub_f16_e32 v23, v27, v23
	;; [unrolled: 1-line block ×8, first 2 shown]
	v_add_f16_e32 v10, v92, v10
	v_add_f16_e32 v27, v93, v27
	v_mul_f16_e32 v32, 0x3a52, v32
	v_mul_f16_e32 v33, 0x3a52, v33
	v_mul_f16_e32 v88, 0x2b26, v34
	v_mul_f16_e32 v89, 0x2b26, v35
	v_mul_f16_e32 v92, 0xb846, v94
	v_mul_f16_e32 v93, 0xb846, v95
	v_mul_f16_e32 v94, 0x3b00, v12
	v_mul_f16_e32 v95, 0x3b00, v25
	v_add_f16_e32 v86, v86, v96
	v_add_f16_e32 v87, v87, v97
	v_sub_f16_e32 v15, v11, v15
	v_sub_f16_e32 v24, v28, v24
	v_add_f16_e32 v11, v100, v11
	v_add_f16_e32 v28, v101, v28
	v_mul_f16_e32 v100, 0xb846, v102
	v_mul_f16_e32 v101, 0xb846, v103
	;; [unrolled: 1-line block ×4, first 2 shown]
	v_add_f16_e32 v8, v8, v36
	v_add_f16_e32 v31, v31, v37
	v_mul_f16_e32 v39, 0x3a52, v39
	v_mul_f16_e32 v40, 0x3a52, v40
	;; [unrolled: 1-line block ×4, first 2 shown]
	v_fmamk_f16 v34, v34, 0x2b26, v32
	v_fmamk_f16 v35, v35, 0x2b26, v33
	v_fma_f16 v88, v90, 0x39e0, -v88
	v_fma_f16 v89, v91, 0x39e0, -v89
	;; [unrolled: 1-line block ×4, first 2 shown]
	v_fmamk_f16 v90, v14, 0x3574, v92
	v_fmamk_f16 v91, v23, 0x3574, v93
	v_fma_f16 v12, v12, 0x3b00, -v92
	v_fma_f16 v25, v25, 0x3b00, -v93
	;; [unrolled: 1-line block ×4, first 2 shown]
	v_add_f16_e32 v9, v9, v86
	v_add_f16_e32 v38, v38, v87
	v_fmamk_f16 v94, v15, 0x3574, v100
	v_fmamk_f16 v95, v24, 0x3574, v101
	v_fma_f16 v13, v13, 0x3b00, -v100
	v_fma_f16 v26, v26, 0x3b00, -v101
	;; [unrolled: 1-line block ×4, first 2 shown]
	v_fmamk_f16 v36, v36, 0xbcab, v8
	v_fmamk_f16 v37, v37, 0xbcab, v31
	;; [unrolled: 1-line block ×4, first 2 shown]
	v_fma_f16 v92, v98, 0x39e0, -v96
	v_fma_f16 v93, v99, 0x39e0, -v97
	;; [unrolled: 1-line block ×4, first 2 shown]
	v_fmac_f16_e32 v90, 0x370e, v10
	v_fmac_f16_e32 v91, 0x370e, v27
	;; [unrolled: 1-line block ×6, first 2 shown]
	v_fmamk_f16 v10, v86, 0xbcab, v9
	v_fmamk_f16 v27, v87, 0xbcab, v38
	v_fmac_f16_e32 v94, 0x370e, v11
	v_fmac_f16_e32 v95, 0x370e, v28
	v_fmac_f16_e32 v13, 0x370e, v11
	v_fmac_f16_e32 v26, 0x370e, v28
	v_fmac_f16_e32 v15, 0x370e, v11
	v_fmac_f16_e32 v24, 0x370e, v28
	v_add_f16_e32 v11, v34, v36
	v_add_f16_e32 v28, v35, v37
	v_pack_b32_f16 v8, v8, v31
	v_add_f16_e32 v31, v88, v36
	v_add_f16_e32 v34, v89, v37
	;; [unrolled: 1-line block ×4, first 2 shown]
	v_pack_b32_f16 v9, v9, v38
	v_add_f16_e32 v35, v43, v10
	v_add_f16_e32 v36, v85, v27
	;; [unrolled: 1-line block ×7, first 2 shown]
	v_sub_f16_e32 v40, v28, v90
	v_add_f16_e32 v43, v23, v32
	v_sub_f16_e32 v85, v33, v14
	v_sub_f16_e32 v86, v31, v25
	v_add_f16_e32 v87, v12, v34
	v_add_f16_e32 v25, v25, v31
	v_sub_f16_e32 v12, v34, v12
	v_sub_f16_e32 v23, v32, v23
	v_add_f16_e32 v14, v14, v33
	v_sub_f16_e32 v11, v11, v91
	v_add_f16_e32 v28, v90, v28
	v_add_f16_e32 v31, v95, v35
	v_sub_f16_e32 v32, v36, v94
	v_add_f16_e32 v33, v24, v10
	v_sub_f16_e32 v34, v27, v15
	v_sub_f16_e32 v88, v37, v26
	v_add_f16_e32 v89, v13, v38
	v_add_f16_e32 v26, v26, v37
	v_sub_f16_e32 v13, v38, v13
	v_sub_f16_e32 v10, v10, v24
	v_add_f16_e32 v15, v15, v27
	v_sub_f16_e32 v24, v35, v95
	v_add_f16_e32 v27, v94, v36
	v_pack_b32_f16 v35, v39, v40
	v_pack_b32_f16 v36, v43, v85
	;; [unrolled: 1-line block ×12, first 2 shown]
	ds_store_2addr_b32 v65, v8, v35 offset1:34
	ds_store_2addr_b32 v65, v36, v37 offset0:68 offset1:102
	ds_store_2addr_b32 v65, v12, v14 offset0:136 offset1:170
	ds_store_b32 v65, v11 offset:816
	ds_store_2addr_b32 v64, v9, v23 offset1:34
	ds_store_2addr_b32 v64, v25, v28 offset0:68 offset1:102
	ds_store_2addr_b32 v64, v13, v10 offset0:136 offset1:170
	ds_store_b32 v64, v15 offset:816
	global_wb scope:SCOPE_SE
	s_wait_dscnt 0x0
	s_barrier_signal -1
	s_barrier_wait -1
	global_inv scope:SCOPE_SE
	s_clause 0x3
	global_load_b128 v[12:15], v[29:30], off offset:884
	global_load_b64 v[23:24], v[29:30], off offset:900
	global_load_b128 v[8:11], v[29:30], off offset:3740
	global_load_b64 v[25:26], v[29:30], off offset:3756
	ds_load_2addr_b32 v[27:28], v48 offset1:119
	ds_load_2addr_b32 v[29:30], v115 offset0:110 offset1:229
	ds_load_2addr_b32 v[31:32], v116 offset0:92 offset1:211
	;; [unrolled: 1-line block ×6, first 2 shown]
	v_lshlrev_b32_e32 v43, 2, v42
	s_wait_dscnt 0x6
	v_lshrrev_b32_e32 v97, 16, v27
	s_wait_dscnt 0x5
	v_lshrrev_b32_e32 v98, 16, v29
	;; [unrolled: 2-line block ×7, first 2 shown]
	v_lshrrev_b32_e32 v105, 16, v30
	v_lshrrev_b32_e32 v106, 16, v32
	;; [unrolled: 1-line block ×7, first 2 shown]
	s_wait_loadcnt 0x3
	v_lshrrev_b32_e32 v96, 16, v12
	v_lshrrev_b32_e32 v95, 16, v13
	;; [unrolled: 1-line block ×4, first 2 shown]
	s_wait_loadcnt 0x2
	v_lshrrev_b32_e32 v92, 16, v23
	v_lshrrev_b32_e32 v91, 16, v24
	s_wait_loadcnt 0x1
	v_lshrrev_b32_e32 v90, 16, v8
	v_lshrrev_b32_e32 v89, 16, v9
	s_wait_loadcnt 0x0
	v_lshrrev_b32_e32 v86, 16, v25
	v_lshrrev_b32_e32 v85, 16, v26
	v_lshrrev_b32_e32 v88, 16, v10
	v_lshrrev_b32_e32 v87, 16, v11
	v_mul_f16_e32 v117, v98, v96
	v_mul_f16_e32 v118, v29, v96
	;; [unrolled: 1-line block ×11, first 2 shown]
	v_mul_f16_e64 v128, v39, v91
	v_mul_f16_e64 v129, v105, v90
	;; [unrolled: 1-line block ×13, first 2 shown]
	v_fma_f16 v29, v29, v12, -v117
	v_fmac_f16_e32 v118, v98, v12
	v_fma_f16 v31, v31, v13, -v119
	v_fmac_f16_e32 v120, v99, v13
	;; [unrolled: 2-line block ×5, first 2 shown]
	v_fma_f16 v39, v39, v24, -v127
	v_fmac_f16_e64 v128, v103, v24
	v_fma_f16 v30, v30, v8, -v129
	v_fmac_f16_e64 v130, v105, v8
	;; [unrolled: 2-line block ×7, first 2 shown]
	v_add_f16_e32 v98, v29, v39
	v_add_f16_e64 v99, v118, v128
	v_sub_f16_e32 v29, v29, v39
	v_add_f16_e32 v100, v31, v37
	v_add_f16_e32 v101, v120, v126
	v_sub_f16_e32 v31, v31, v37
	v_sub_f16_e32 v37, v120, v126
	v_add_f16_e32 v102, v33, v35
	v_add_f16_e32 v103, v122, v124
	v_sub_f16_e32 v33, v35, v33
	v_sub_f16_e32 v35, v124, v122
	v_add_f16_e32 v105, v30, v40
	v_add_f16_e64 v106, v130, v140
	v_add_f16_e32 v107, v32, v38
	v_add_f16_e64 v108, v132, v138
	v_sub_f16_e64 v39, v118, v128
	v_sub_f16_e32 v30, v30, v40
	v_sub_f16_e32 v32, v32, v38
	v_sub_f16_e64 v38, v132, v138
	v_add_f16_e32 v109, v34, v36
	v_add_f16_e64 v110, v134, v136
	v_sub_f16_e32 v34, v36, v34
	v_sub_f16_e64 v36, v136, v134
	v_add_f16_e32 v117, v100, v98
	v_add_f16_e32 v118, v101, v99
	v_sub_f16_e32 v119, v100, v98
	v_sub_f16_e32 v120, v101, v99
	;; [unrolled: 1-line block ×6, first 2 shown]
	v_add_f16_e32 v121, v33, v31
	v_add_f16_e32 v122, v35, v37
	v_sub_f16_e32 v123, v33, v31
	v_sub_f16_e32 v124, v35, v37
	;; [unrolled: 1-line block ×3, first 2 shown]
	v_add_f16_e32 v125, v107, v105
	v_add_f16_e32 v126, v108, v106
	v_sub_f16_e64 v40, v130, v140
	v_sub_f16_e32 v33, v29, v33
	v_sub_f16_e32 v35, v39, v35
	;; [unrolled: 1-line block ×4, first 2 shown]
	v_sub_f16_e64 v128, v108, v106
	v_sub_f16_e32 v105, v105, v109
	v_sub_f16_e32 v106, v106, v110
	;; [unrolled: 1-line block ×4, first 2 shown]
	v_add_f16_e64 v129, v34, v32
	v_add_f16_e64 v130, v36, v38
	v_sub_f16_e64 v131, v34, v32
	v_sub_f16_e64 v132, v36, v38
	v_sub_f16_e32 v32, v32, v30
	v_add_f16_e32 v102, v102, v117
	v_add_f16_e32 v103, v103, v118
	;; [unrolled: 1-line block ×4, first 2 shown]
	v_mul_f16_e32 v98, 0x3a52, v98
	v_mul_f16_e32 v99, 0x3a52, v99
	;; [unrolled: 1-line block ×7, first 2 shown]
	v_add_f16_e32 v109, v109, v125
	v_add_f16_e32 v110, v110, v126
	v_sub_f16_e32 v38, v38, v40
	v_sub_f16_e32 v34, v30, v34
	;; [unrolled: 1-line block ×3, first 2 shown]
	v_mul_f16_e32 v124, 0x3b00, v37
	v_add_f16_e64 v125, v129, v30
	v_add_f16_e64 v40, v130, v40
	v_mul_f16_e32 v105, 0x3a52, v105
	v_mul_f16_e32 v106, 0x3a52, v106
	;; [unrolled: 1-line block ×3, first 2 shown]
	v_mul_f16_e64 v129, 0x2b26, v108
	v_mul_f16_e64 v130, 0xb846, v131
	;; [unrolled: 1-line block ×4, first 2 shown]
	v_add_f16_e32 v27, v27, v102
	v_add_f16_e32 v97, v97, v103
	v_fmamk_f16 v100, v100, 0x2b26, v98
	v_fmamk_f16 v101, v101, 0x2b26, v99
	v_fma_f16 v117, v119, 0x39e0, -v117
	v_fma_f16 v118, v120, 0x39e0, -v118
	;; [unrolled: 1-line block ×4, first 2 shown]
	v_fmamk_f16 v120, v33, 0x3574, v121
	v_fma_f16 v134, 0x3574, v35, v122
	v_fma_f16 v121, v31, 0x3b00, -v121
	v_fma_f16 v37, v37, 0x3b00, -v122
	;; [unrolled: 1-line block ×3, first 2 shown]
	v_add_f16_e32 v30, v28, v109
	v_add_f16_e32 v98, v104, v110
	v_mul_f16_e64 v133, 0x3b00, v38
	v_fma_f16 v35, v35, 0xb574, -v124
	v_fmamk_f16 v28, v107, 0x2b26, v105
	v_fmamk_f16 v31, v108, 0x2b26, v106
	v_fma_f16 v33, v127, 0x39e0, -v126
	v_fma_f16 v104, v128, 0x39e0, -v129
	;; [unrolled: 1-line block ×4, first 2 shown]
	v_fma_f16 v123, 0x3574, v34, v130
	v_fma_f16 v124, 0x3574, v36, v131
	v_fma_f16 v126, v32, 0x3b00, -v130
	v_fma_f16 v127, v38, 0x3b00, -v131
	;; [unrolled: 1-line block ×3, first 2 shown]
	v_fmamk_f16 v32, v102, 0xbcab, v27
	v_fmamk_f16 v34, v103, 0xbcab, v97
	v_fmac_f16_e32 v120, 0x370e, v29
	v_fmac_f16_e32 v121, 0x370e, v29
	;; [unrolled: 1-line block ×3, first 2 shown]
	v_fmamk_f16 v29, v109, 0xbcab, v30
	v_fmamk_f16 v38, v110, 0xbcab, v98
	v_fma_f16 v36, v36, 0xb574, -v133
	v_fmac_f16_e64 v134, 0x370e, v39
	v_fmac_f16_e32 v37, 0x370e, v39
	v_fmac_f16_e32 v123, 0x370e, v125
	;; [unrolled: 1-line block ×3, first 2 shown]
	v_add_f16_e32 v100, v100, v32
	v_add_f16_e32 v101, v101, v34
	;; [unrolled: 1-line block ×7, first 2 shown]
	v_fmac_f16_e32 v35, 0x370e, v39
	v_fmac_f16_e64 v128, 0x370e, v125
	v_fmac_f16_e32 v36, 0x370e, v40
	v_add_f16_e32 v99, v99, v34
	v_add_f16_e64 v130, v105, v29
	v_add_f16_e64 v131, v106, v38
	v_fmac_f16_e32 v126, 0x370e, v125
	v_fmac_f16_e32 v127, 0x370e, v40
	v_pack_b32_f16 v39, v27, v97
	v_pack_b32_f16 v40, v30, v98
	v_add_f16_e32 v125, v33, v29
	v_add_f16_e64 v129, v104, v38
	v_add_f16_e64 v28, v134, v100
	v_sub_f16_e32 v110, v101, v120
	v_sub_f16_e32 v32, v102, v37
	v_add_f16_e32 v33, v37, v102
	v_add_f16_e32 v37, v124, v118
	v_sub_f16_e32 v104, v119, v123
	v_add_f16_e32 v31, v35, v117
	v_sub_f16_e32 v109, v99, v122
	;; [unrolled: 2-line block ×3, first 2 shown]
	v_add_f16_e64 v38, v36, v130
	v_sub_f16_e64 v103, v131, v128
	ds_store_2addr_b32 v48, v39, v40 offset1:119
	v_sub_f16_e32 v39, v125, v127
	v_add_f16_e64 v102, v126, v129
	v_add_f16_e32 v105, v120, v101
	v_add_f16_e32 v40, v127, v125
	v_sub_f16_e64 v101, v129, v126
	v_sub_f16_e32 v34, v117, v35
	v_add_f16_e32 v106, v122, v99
	v_sub_f16_e64 v29, v100, v134
	v_sub_f16_e64 v35, v130, v36
	v_add_f16_e64 v100, v128, v131
	v_sub_f16_e32 v36, v118, v124
	v_add_f16_e32 v99, v123, v119
	v_pack_b32_f16 v117, v28, v110
	v_pack_b32_f16 v123, v37, v104
	;; [unrolled: 1-line block ×12, first 2 shown]
	ds_store_2addr_b32 v115, v117, v123 offset0:110 offset1:229
	ds_store_2addr_b32 v116, v118, v124 offset0:92 offset1:211
	;; [unrolled: 1-line block ×6, first 2 shown]
	global_wb scope:SCOPE_SE
	s_wait_dscnt 0x0
	s_barrier_signal -1
	s_barrier_wait -1
	global_inv scope:SCOPE_SE
	s_and_saveexec_b32 s2, vcc_lo
	s_cbranch_execz .LBB0_9
; %bb.8:
	global_load_b32 v111, v41, s[12:13] offset:6664
	s_add_nc_u64 s[0:1], s[12:13], 0x1a08
	s_clause 0xf
	global_load_b32 v127, v41, s[0:1] offset:392
	global_load_b32 v128, v41, s[0:1] offset:784
	;; [unrolled: 1-line block ×16, first 2 shown]
	ds_load_b32 v112, v48
	v_add_nc_u32_e32 v143, 0x400, v43
	v_add_nc_u32_e32 v144, 0x600, v43
	;; [unrolled: 1-line block ×7, first 2 shown]
	s_wait_dscnt 0x0
	v_lshrrev_b32_e32 v113, 16, v112
	s_wait_loadcnt 0xf
	v_lshrrev_b32_e32 v150, 16, v127
	s_wait_loadcnt 0xe
	;; [unrolled: 2-line block ×12, first 2 shown]
	v_lshrrev_b32_e32 v161, 16, v138
	v_lshrrev_b32_e32 v114, 16, v111
	s_wait_loadcnt 0x3
	v_lshrrev_b32_e32 v162, 16, v139
	s_wait_loadcnt 0x2
	;; [unrolled: 2-line block ×4, first 2 shown]
	v_lshrrev_b32_e32 v165, 16, v142
	v_mul_f16_e32 v115, v113, v114
	v_mul_f16_e32 v114, v112, v114
	s_delay_alu instid0(VALU_DEP_2) | instskip(NEXT) | instid1(VALU_DEP_2)
	v_fma_f16 v112, v112, v111, -v115
	v_fmac_f16_e32 v114, v113, v111
	s_delay_alu instid0(VALU_DEP_1)
	v_pack_b32_f16 v111, v112, v114
	ds_store_b32 v48, v111
	ds_load_2addr_b32 v[111:112], v43 offset0:98 offset1:196
	ds_load_2addr_b32 v[113:114], v143 offset0:38 offset1:136
	;; [unrolled: 1-line block ×8, first 2 shown]
	s_wait_dscnt 0x7
	v_lshrrev_b32_e32 v166, 16, v111
	v_lshrrev_b32_e32 v168, 16, v112
	s_wait_dscnt 0x6
	v_lshrrev_b32_e32 v170, 16, v113
	v_lshrrev_b32_e32 v172, 16, v114
	;; [unrolled: 3-line block ×5, first 2 shown]
	v_mul_f16_e64 v167, v111, v150
	v_mul_f16_e64 v169, v112, v151
	s_wait_dscnt 0x2
	v_lshrrev_b32_e32 v186, 16, v121
	v_lshrrev_b32_e32 v188, 16, v122
	s_wait_dscnt 0x1
	v_lshrrev_b32_e32 v190, 16, v123
	v_lshrrev_b32_e32 v192, 16, v124
	;; [unrolled: 3-line block ×3, first 2 shown]
	v_mul_f16_e64 v150, v166, v150
	v_mul_f16_e64 v151, v168, v151
	;; [unrolled: 1-line block ×24, first 2 shown]
	v_fmac_f16_e64 v167, v166, v127
	v_fmac_f16_e64 v169, v168, v128
	v_mul_f16_e64 v160, v186, v160
	v_mul_f16_e64 v161, v188, v161
	;; [unrolled: 1-line block ×6, first 2 shown]
	v_fma_f16 v111, v111, v127, -v150
	v_fma_f16 v112, v112, v128, -v151
	v_fmac_f16_e64 v171, v170, v129
	v_fmac_f16_e64 v173, v172, v130
	v_fma_f16 v113, v113, v129, -v152
	v_fma_f16 v114, v114, v130, -v153
	v_fmac_f16_e64 v175, v174, v131
	v_fmac_f16_e64 v177, v176, v132
	;; [unrolled: 4-line block ×5, first 2 shown]
	v_fmac_f16_e64 v191, v190, v139
	v_fmac_f16_e64 v193, v192, v140
	v_fmac_f16_e64 v195, v194, v141
	v_fmac_f16_e64 v197, v196, v142
	v_fma_f16 v121, v121, v137, -v160
	v_fma_f16 v122, v122, v138, -v161
	v_fma_f16 v123, v123, v139, -v162
	v_fma_f16 v124, v124, v140, -v163
	v_fma_f16 v125, v125, v141, -v164
	v_fma_f16 v126, v126, v142, -v165
	v_pack_b32_f16 v111, v111, v167
	v_pack_b32_f16 v112, v112, v169
	;; [unrolled: 1-line block ×16, first 2 shown]
	ds_store_2addr_b32 v43, v111, v112 offset0:98 offset1:196
	ds_store_2addr_b32 v143, v113, v114 offset0:38 offset1:136
	;; [unrolled: 1-line block ×8, first 2 shown]
.LBB0_9:
	s_wait_alu 0xfffe
	s_or_b32 exec_lo, exec_lo, s2
	global_wb scope:SCOPE_SE
	s_wait_dscnt 0x0
	s_barrier_signal -1
	s_barrier_wait -1
	global_inv scope:SCOPE_SE
	s_and_saveexec_b32 s0, vcc_lo
	s_cbranch_execz .LBB0_11
; %bb.10:
	v_add_nc_u32_e32 v17, 0x200, v48
	v_add_nc_u32_e32 v18, 0x400, v48
	;; [unrolled: 1-line block ×4, first 2 shown]
	ds_load_2addr_b32 v[27:28], v48 offset1:98
	ds_load_2addr_b32 v[31:32], v17 offset0:68 offset1:166
	v_add_nc_u32_e32 v17, 0xc00, v48
	ds_load_2addr_b32 v[33:34], v18 offset0:136 offset1:234
	v_add_nc_u32_e32 v18, 0xe00, v48
	ds_load_2addr_b32 v[29:30], v29 offset0:76 offset1:174
	ds_load_2addr_b32 v[37:38], v17 offset0:16 offset1:114
	v_add_nc_u32_e32 v17, 0x1400, v48
	ds_load_2addr_b32 v[39:40], v18 offset0:84 offset1:182
	ds_load_2addr_b32 v[35:36], v35 offset0:152 offset1:250
	;; [unrolled: 1-line block ×3, first 2 shown]
	ds_load_b32 v45, v48 offset:6272
	s_wait_dscnt 0x8
	v_lshrrev_b32_e32 v97, 16, v27
	v_lshrrev_b32_e32 v110, 16, v28
	s_wait_dscnt 0x7
	v_lshrrev_b32_e32 v109, 16, v31
	v_lshrrev_b32_e32 v108, 16, v32
	;; [unrolled: 3-line block ×8, first 2 shown]
	s_wait_dscnt 0x0
	v_lshrrev_b32_e32 v46, 16, v45
.LBB0_11:
	s_wait_alu 0xfffe
	s_or_b32 exec_lo, exec_lo, s0
	global_wb scope:SCOPE_SE
	s_barrier_signal -1
	s_barrier_wait -1
	global_inv scope:SCOPE_SE
	s_and_saveexec_b32 s0, vcc_lo
	s_cbranch_execz .LBB0_13
; %bb.12:
	v_sub_f16_e32 v116, v28, v45
	v_add_f16_e64 v147, v46, v110
	v_sub_f16_e32 v115, v31, v18
	v_add_f16_e64 v146, v47, v109
	v_sub_f16_e32 v111, v32, v17
	v_mul_f16_e64 v156, 0xbbf7, v116
	v_add_f16_e64 v145, v49, v108
	v_mul_f16_e64 v157, 0xb1e1, v115
	v_sub_f16_e32 v112, v33, v36
	v_mul_f16_e64 v159, 0x3bb2, v111
	v_fma_f16 v114, 0x2de8, v147, v156
	v_add_f16_e64 v134, v99, v107
	v_fma_f16 v117, 0xbbdd, v146, v157
	v_sub_f16_e32 v113, v34, v35
	v_mul_f16_e64 v155, 0x35c8, v112
	v_add_f16_e32 v118, v97, v114
	v_fma_f16 v119, 0xb461, v145, v159
	v_add_f16_e64 v132, v100, v106
	v_sub_f16_e32 v114, v29, v40
	v_sub_f16_e64 v135, v110, v46
	v_add_f16_e32 v117, v117, v118
	v_mul_f16_e64 v160, 0xbb29, v113
	v_fma_f16 v120, 0x3b76, v134, v155
	v_add_f16_e64 v131, v101, v105
	v_add_f16_e32 v118, v45, v28
	v_add_f16_e32 v117, v119, v117
	v_sub_f16_e64 v136, v109, v47
	v_mul_f16_e64 v161, 0xb836, v114
	v_mul_f16_e64 v167, 0xbbf7, v135
	v_fma_f16 v121, 0x3722, v132, v160
	v_add_f16_e32 v117, v120, v117
	v_add_f16_e32 v119, v18, v31
	v_mul_f16_e64 v166, 0xb1e1, v136
	v_fma_f16 v120, 0xbacd, v131, v161
	v_fma_f16 v122, v118, 0x2de8, -v167
	v_add_f16_e32 v121, v121, v117
	v_sub_f16_e64 v137, v108, v49
	v_sub_f16_e32 v117, v30, v39
	v_fma_f16 v123, v119, 0xbbdd, -v166
	v_add_f16_e32 v122, v27, v122
	v_add_f16_e32 v124, v120, v121
	;; [unrolled: 1-line block ×3, first 2 shown]
	v_mul_f16_e64 v168, 0x3bb2, v137
	v_sub_f16_e64 v139, v107, v99
	v_mul_f16_e64 v158, 0x3a62, v117
	v_add_f16_e64 v138, v102, v98
	v_add_f16_e32 v123, v123, v122
	v_fma_f16 v125, v121, 0xb461, -v168
	v_add_f16_e32 v122, v36, v33
	v_mul_f16_e64 v163, 0x35c8, v139
	v_sub_f16_e64 v141, v106, v100
	v_mul_f16_e64 v172, 0xbbb2, v116
	v_fma_f16 v126, 0xb8d2, v138, v158
	v_add_f16_e32 v125, v125, v123
	v_fma_f16 v127, v122, 0x3b76, -v163
	v_add_f16_e32 v123, v35, v34
	v_mul_f16_e64 v164, 0xbb29, v141
	v_sub_f16_e64 v142, v105, v101
	v_fma_f16 v128, 0xb461, v147, v172
	v_mul_f16_e64 v180, 0x3836, v115
	v_add_f16_e32 v124, v126, v124
	v_add_f16_e32 v126, v127, v125
	v_fma_f16 v127, v123, 0x3722, -v164
	v_add_f16_e32 v125, v40, v29
	v_mul_f16_e64 v170, 0xb836, v142
	v_sub_f16_e64 v144, v98, v102
	v_add_f16_e64 v128, v97, v128
	v_fma_f16 v130, 0xbacd, v146, v180
	v_mul_f16_e64 v181, 0x3964, v111
	v_sub_f16_e32 v120, v37, v38
	v_add_f16_e32 v127, v127, v126
	v_fma_f16 v129, v125, 0xbacd, -v170
	v_add_f16_e32 v126, v39, v30
	v_mul_f16_e64 v171, 0x3a62, v144
	v_add_f16_e64 v128, v130, v128
	v_fma_f16 v130, 0x39e9, v145, v181
	v_mul_f16_e64 v173, 0xbb29, v112
	v_mul_f16_e64 v162, 0x3964, v120
	v_add_f16_e64 v140, v103, v104
	v_add_f16_e64 v127, v129, v127
	v_fma_f16 v129, v126, 0xb8d2, -v171
	v_sub_f16_e64 v148, v104, v103
	v_add_f16_e64 v128, v130, v128
	v_fma_f16 v130, 0x3722, v134, v173
	v_mul_f16_e64 v177, 0xb1e1, v113
	v_mul_f16_e64 v182, 0xbbb2, v135
	v_fma_f16 v133, 0x39e9, v140, v162
	v_add_f16_e64 v129, v129, v127
	v_add_f16_e32 v127, v38, v37
	v_mul_f16_e64 v165, 0x3964, v148
	v_add_f16_e64 v128, v130, v128
	v_fma_f16 v130, 0xbbdd, v132, v177
	v_mul_f16_e64 v183, 0x3bf7, v114
	v_fma_f16 v143, v118, 0xb461, -v182
	v_mul_f16_e64 v184, 0x3836, v136
	v_add_f16_e64 v124, v133, v124
	v_fma_f16 v133, v127, 0x39e9, -v165
	v_add_f16_e64 v128, v130, v128
	v_fma_f16 v130, 0x2de8, v131, v183
	v_add_f16_e64 v143, v27, v143
	v_fma_f16 v149, v119, 0xbacd, -v184
	v_mul_f16_e64 v179, 0x3964, v137
	v_mul_f16_e64 v176, 0xb5c8, v117
	v_add_f16_e64 v130, v130, v128
	v_add_f16_e64 v128, v133, v129
	;; [unrolled: 1-line block ×3, first 2 shown]
	v_fma_f16 v133, v121, 0x39e9, -v179
	v_mul_f16_e64 v185, 0xbb29, v139
	v_mul_f16_e64 v154, 0xba62, v116
	v_fma_f16 v150, 0x3b76, v138, v176
	v_mul_f16_e64 v186, 0xb1e1, v141
	v_add_f16_e64 v129, v133, v129
	v_fma_f16 v133, v122, 0x3722, -v185
	v_fma_f16 v149, 0xb8d2, v147, v154
	v_mul_f16_e64 v169, 0x3bb2, v115
	v_add_f16_e64 v130, v150, v130
	v_mul_f16_e64 v174, 0xba62, v120
	v_add_f16_e64 v129, v133, v129
	v_fma_f16 v133, v123, 0xbbdd, -v186
	v_mul_f16_e64 v187, 0x3bf7, v142
	v_add_f16_e64 v149, v97, v149
	v_fma_f16 v150, 0xb461, v146, v169
	v_mul_f16_e64 v188, 0xb5c8, v111
	v_fma_f16 v143, 0xb8d2, v140, v174
	v_add_f16_e64 v129, v133, v129
	v_fma_f16 v133, v125, 0x2de8, -v187
	v_add_f16_e64 v149, v150, v149
	v_fma_f16 v150, 0x3b76, v145, v188
	v_mul_f16_e64 v189, 0xb836, v112
	v_mul_f16_e64 v190, 0x3bf7, v113
	v_add_f16_e64 v133, v133, v129
	v_add_f16_e64 v129, v143, v130
	;; [unrolled: 1-line block ×3, first 2 shown]
	v_fma_f16 v143, 0xbacd, v134, v189
	v_mul_f16_e64 v178, 0xb5c8, v144
	v_mul_f16_e64 v191, 0xba62, v135
	;; [unrolled: 1-line block ×4, first 2 shown]
	v_add_f16_e64 v130, v143, v130
	v_fma_f16 v143, 0x2de8, v132, v190
	v_fma_f16 v151, v126, 0x3b76, -v178
	v_fma_f16 v150, v118, 0xb8d2, -v191
	v_mul_f16_e64 v193, 0x3bb2, v136
	v_mul_f16_e64 v194, 0xb1e1, v117
	v_add_f16_e64 v130, v143, v130
	v_fma_f16 v143, 0x39e9, v131, v192
	v_add_f16_e64 v133, v151, v133
	v_fma_f16 v149, v127, 0xb8d2, -v175
	v_add_f16_e64 v150, v27, v150
	v_fma_f16 v151, v119, 0xb461, -v193
	v_mul_f16_e64 v195, 0xb5c8, v137
	v_add_f16_e64 v143, v143, v130
	v_fma_f16 v152, 0xbbdd, v138, v194
	v_add_f16_e64 v130, v149, v133
	v_add_f16_e64 v133, v151, v150
	v_fma_f16 v149, v121, 0x3b76, -v195
	v_mul_f16_e64 v196, 0xb836, v139
	v_add_f16_e64 v143, v152, v143
	v_mul_f16_e64 v152, 0xb836, v116
	v_mul_f16_e64 v198, 0x3bf7, v141
	v_add_f16_e64 v133, v149, v133
	v_fma_f16 v149, v122, 0xbacd, -v196
	v_mul_f16_e64 v153, 0x3b29, v115
	v_fma_f16 v151, 0xbacd, v147, v152
	v_mul_f16_e64 v197, 0x3b29, v120
	v_mul_f16_e64 v199, 0xb964, v142
	v_add_f16_e64 v133, v149, v133
	v_fma_f16 v149, v123, 0x2de8, -v198
	v_add_f16_e64 v151, v97, v151
	v_fma_f16 v200, 0x3722, v146, v153
	v_mul_f16_e64 v201, 0xbbf7, v111
	v_fma_f16 v150, 0x3722, v140, v197
	v_add_f16_e64 v133, v149, v133
	v_fma_f16 v149, v125, 0x39e9, -v199
	v_mul_f16_e64 v202, 0xb1e1, v144
	v_add_f16_e64 v151, v200, v151
	v_fma_f16 v200, 0x2de8, v145, v201
	v_mul_f16_e64 v203, 0x3a62, v112
	v_add_f16_e64 v149, v149, v133
	v_fma_f16 v204, v126, 0xbbdd, -v202
	v_add_f16_e64 v133, v150, v143
	v_add_f16_e64 v143, v200, v151
	v_fma_f16 v150, 0xb8d2, v134, v203
	v_mul_f16_e64 v200, 0xb5c8, v113
	v_mul_f16_e64 v205, 0xb836, v135
	v_add_f16_e64 v149, v204, v149
	v_mul_f16_e64 v204, 0x3b29, v148
	v_add_f16_e64 v143, v150, v143
	v_fma_f16 v150, 0x3b76, v132, v200
	v_mul_f16_e64 v206, 0xb1e1, v114
	v_fma_f16 v207, v118, 0xbacd, -v205
	v_mul_f16_e64 v208, 0x3b29, v136
	v_fma_f16 v151, v127, 0x3722, -v204
	v_add_f16_e64 v143, v150, v143
	v_fma_f16 v150, 0xbbdd, v131, v206
	v_mul_f16_e64 v209, 0x3964, v117
	v_add_f16_e64 v207, v27, v207
	v_fma_f16 v210, v119, 0x3722, -v208
	v_mul_f16_e64 v211, 0xbbf7, v137
	v_add_f16_e64 v150, v150, v143
	v_fma_f16 v212, 0x39e9, v138, v209
	v_add_f16_e64 v143, v151, v149
	v_add_f16_e64 v149, v210, v207
	v_fma_f16 v151, v121, 0x2de8, -v211
	v_mul_f16_e64 v207, 0x3a62, v139
	v_add_f16_e64 v150, v212, v150
	v_mul_f16_e64 v212, 0xb1e1, v116
	v_mul_f16_e64 v213, 0xb5c8, v141
	v_add_f16_e64 v149, v151, v149
	v_fma_f16 v151, v122, 0xb8d2, -v207
	v_mul_f16_e64 v216, 0x35c8, v115
	v_fma_f16 v215, 0xbbdd, v147, v212
	v_mul_f16_e64 v217, 0xb1e1, v142
	v_mul_f16_e64 v210, 0xbbb2, v120
	v_add_f16_e64 v149, v151, v149
	v_fma_f16 v151, v123, 0x3b76, -v213
	v_add_f16_e64 v215, v97, v215
	v_fma_f16 v218, 0x3b76, v146, v216
	v_mul_f16_e64 v219, 0xb836, v111
	v_mul_f16_e64 v220, 0x3964, v144
	v_add_f16_e64 v149, v151, v149
	v_fma_f16 v151, v125, 0xbbdd, -v217
	v_fma_f16 v214, 0xb461, v140, v210
	v_add_f16_e64 v215, v218, v215
	v_fma_f16 v218, 0xbacd, v145, v219
	v_mul_f16_e64 v221, 0x3964, v112
	v_add_f16_e64 v151, v151, v149
	v_fma_f16 v222, v126, 0x39e9, -v220
	v_add_f16_e64 v149, v214, v150
	v_add_f16_e64 v150, v218, v215
	v_fma_f16 v214, 0x39e9, v134, v221
	v_mul_f16_e64 v215, 0xba62, v113
	v_add_f16_e64 v151, v222, v151
	v_mul_f16_e64 v222, 0xb1e1, v135
	v_mul_f16_e64 v218, 0xbbb2, v148
	v_add_f16_e64 v150, v214, v150
	v_fma_f16 v214, 0xb8d2, v132, v215
	v_mul_f16_e64 v223, 0x3b29, v114
	v_fma_f16 v225, v118, 0xbbdd, -v222
	v_mul_f16_e64 v226, 0x35c8, v136
	v_fma_f16 v224, v127, 0xb461, -v218
	v_add_f16_e64 v150, v214, v150
	v_fma_f16 v214, 0x3722, v131, v223
	v_mul_f16_e64 v227, 0xbbb2, v117
	v_add_f16_e64 v225, v27, v225
	v_fma_f16 v228, v119, 0x3b76, -v226
	v_mul_f16_e64 v229, 0xb836, v137
	v_add_f16_e64 v214, v214, v150
	v_fma_f16 v230, 0xb461, v138, v227
	v_add_f16_e64 v150, v224, v151
	v_add_f16_e64 v151, v228, v225
	v_fma_f16 v224, v121, 0xbacd, -v229
	v_mul_f16_e64 v225, 0x3964, v139
	v_mul_f16_e64 v228, 0x3bf7, v120
	v_fma_f16 v212, v147, 0xbbdd, -v212
	v_add_f16_e64 v214, v230, v214
	v_add_f16_e64 v151, v224, v151
	v_fma_f16 v224, v122, 0x39e9, -v225
	v_fma_f16 v231, 0x2de8, v140, v228
	v_add_f16_e64 v212, v97, v212
	v_fma_f16 v216, v146, 0x3b76, -v216
	v_fmac_f16_e64 v222, 0xbbdd, v118
	v_add_f16_e64 v224, v224, v151
	v_add_f16_e64 v151, v231, v214
	v_fma_f16 v214, v145, 0xbacd, -v219
	v_add_f16_e64 v212, v216, v212
	v_fma_f16 v152, v147, 0xbacd, -v152
	v_fma_f16 v153, v146, 0x3722, -v153
	;; [unrolled: 1-line block ×4, first 2 shown]
	v_add_f16_e64 v212, v214, v212
	v_fma_f16 v214, v134, 0x39e9, -v221
	v_add_f16_e64 v221, v27, v222
	v_add_f16_e64 v222, v97, v152
	v_fma_f16 v154, v147, 0xb8d2, -v154
	v_fma_f16 v169, v146, 0xb461, -v169
	v_fma_f16 v188, v145, 0x3b76, -v188
	v_fma_f16 v190, v132, 0x2de8, -v190
	v_add_f16_e64 v153, v153, v222
	v_fma_f16 v172, v147, 0xb461, -v172
	v_fma_f16 v180, v146, 0xbacd, -v180
	v_fma_f16 v181, v145, 0x39e9, -v181
	v_fma_f16 v173, v134, 0x3722, -v173
	;; [unrolled: 5-line block ×3, first 2 shown]
	v_fma_f16 v159, v145, 0xb461, -v159
	v_add_f16_e64 v201, v201, v153
	v_fma_f16 v176, v138, 0x3b76, -v176
	v_fmac_f16_e64 v167, 0x2de8, v118
	v_fma_f16 v155, v134, 0x3b76, -v155
	v_fmac_f16_e64 v205, 0xbacd, v118
	v_add_f16_e64 v200, v200, v201
	v_fma_f16 v201, v131, 0xbbdd, -v206
	v_add_f16_e64 v206, v97, v154
	v_fmac_f16_e64 v182, 0xb461, v118
	v_add_f16_e64 v167, v27, v167
	v_fmac_f16_e64 v166, 0xbbdd, v119
	v_fma_f16 v160, v132, 0x3722, -v160
	v_add_f16_e64 v169, v169, v206
	v_add_f16_e64 v205, v27, v205
	v_fmac_f16_e64 v208, 0x3722, v119
	v_add_f16_e64 v182, v27, v182
	v_fmac_f16_e64 v184, 0xbacd, v119
	v_add_f16_e64 v169, v188, v169
	v_fma_f16 v188, v134, 0xbacd, -v189
	v_add_f16_e64 v166, v166, v167
	v_fmac_f16_e64 v168, 0xb461, v121
	v_add_f16_e64 v205, v208, v205
	v_fmac_f16_e64 v211, 0x2de8, v121
	v_add_f16_e64 v188, v188, v169
	v_add_f16_e64 v182, v184, v182
	v_fmac_f16_e64 v179, 0x39e9, v121
	v_fmac_f16_e64 v163, 0x3b76, v122
	v_add_f16_e64 v205, v211, v205
	v_add_f16_e64 v188, v190, v188
	v_fma_f16 v190, v131, 0x39e9, -v192
	v_add_f16_e64 v192, v97, v172
	v_fmac_f16_e64 v207, 0xb8d2, v122
	v_fmac_f16_e64 v191, 0xb8d2, v118
	v_add_f16_e64 v179, v179, v182
	v_fmac_f16_e64 v185, 0x3722, v122
	v_add_f16_e64 v180, v180, v192
	v_fma_f16 v158, v138, 0xb8d2, -v158
	v_fmac_f16_e64 v164, 0x3722, v123
	v_add_f16_e64 v200, v201, v200
	v_fma_f16 v201, v138, 0x39e9, -v209
	v_add_f16_e64 v180, v181, v180
	v_add_f16_e64 v205, v207, v205
	v_fmac_f16_e64 v213, 0x3b76, v123
	v_add_f16_e64 v191, v27, v191
	v_fmac_f16_e64 v193, 0xb461, v119
	v_add_f16_e64 v180, v173, v180
	v_add_f16_e64 v179, v185, v179
	v_fmac_f16_e64 v186, 0xbbdd, v123
	v_add_f16_e64 v200, v201, v200
	v_add_f16_e64 v201, v213, v205
	;; [unrolled: 1-line block ×3, first 2 shown]
	v_fma_f16 v180, v131, 0x2de8, -v183
	v_fmac_f16_e64 v217, 0xbbdd, v125
	v_add_f16_e64 v191, v193, v191
	v_fmac_f16_e64 v195, 0x3b76, v121
	v_fmac_f16_e64 v187, 0x2de8, v125
	v_add_f16_e64 v177, v180, v177
	v_add_f16_e64 v180, v97, v156
	v_mul_f16_e64 v167, 0xb461, v134
	v_add_f16_e64 v189, v217, v201
	v_fmac_f16_e64 v220, 0x39e9, v126
	v_add_f16_e64 v176, v176, v177
	v_add_f16_e64 v157, v157, v180
	;; [unrolled: 1-line block ×4, first 2 shown]
	v_fmac_f16_e64 v196, 0xbacd, v122
	v_fmac_f16_e64 v178, 0x3b76, v126
	v_add_f16_e64 v157, v159, v157
	v_fma_f16 v159, v140, 0xb8d2, -v174
	v_add_f16_e64 v174, v187, v177
	v_add_f16_e64 v189, v220, v189
	v_fmac_f16_e64 v218, 0xb461, v127
	v_add_f16_e64 v157, v155, v157
	v_add_f16_e64 v155, v159, v176
	v_fma_f16 v159, v131, 0xbacd, -v161
	v_add_f16_e64 v161, v168, v166
	v_mul_f16_e64 v166, 0xb8d2, v146
	v_add_f16_e64 v157, v160, v157
	v_mul_f16_e64 v168, 0x39e9, v132
	v_add_f16_e64 v191, v196, v191
	v_add_f16_e64 v161, v163, v161
	v_fmac_f16_e64 v198, 0x2de8, v123
	v_add_f16_e64 v157, v159, v157
	v_mul_f16_e64 v159, 0x3722, v147
	v_add_f16_e64 v160, v178, v174
	v_mul_f16_e64 v174, 0x3b76, v131
	v_add_f16_e64 v172, v218, v189
	v_add_f16_e64 v157, v158, v157
	v_fma_f16 v163, 0x3b29, v116, v159
	v_add_f16_e64 v158, v164, v161
	v_mul_f16_e64 v164, 0xbbdd, v145
	v_add_f16_e64 v189, v198, v191
	v_fmac_f16_e64 v199, 0x39e9, v125
	v_add_f16_e64 v161, v97, v163
	v_fma_f16 v163, 0x3a62, v115, v166
	v_mul_f16_e64 v177, 0x2de8, v138
	v_fmac_f16_e64 v202, 0xbbdd, v126
	v_add_f16_e64 v181, v199, v189
	v_mul_f16_e64 v179, 0x39e9, v147
	v_add_f16_e64 v161, v163, v161
	v_fma_f16 v163, 0xb1e1, v111, v164
	v_fmac_f16_e64 v204, 0x3722, v127
	v_add_f16_e64 v181, v202, v181
	v_fma_f16 v182, 0x3964, v116, v179
	v_mul_f16_e64 v183, 0x2de8, v146
	v_add_f16_e64 v161, v163, v161
	v_fma_f16 v163, 0xbbb2, v112, v167
	v_add_f16_e64 v188, v190, v188
	v_fma_f16 v190, v138, 0xbbdd, -v194
	v_add_f16_e64 v156, v204, v181
	v_add_f16_e64 v182, v97, v182
	;; [unrolled: 1-line block ×3, first 2 shown]
	v_fma_f16 v163, 0xb964, v113, v168
	v_fma_f16 v185, 0x3bf7, v115, v183
	v_mul_f16_e64 v186, 0xb8d2, v145
	v_add_f16_e64 v188, v190, v188
	v_fma_f16 v190, v140, 0x3722, -v197
	v_add_f16_e64 v161, v163, v161
	v_fma_f16 v163, 0x35c8, v114, v174
	v_mul_f16_e64 v192, 0xb461, v131
	v_mul_f16_e64 v195, 0x3722, v138
	v_add_f16_e64 v173, v190, v188
	v_mul_f16_e64 v188, 0xbacd, v132
	v_add_f16_e64 v161, v163, v161
	v_fma_f16 v163, 0x3bf7, v117, v177
	v_add_f16_e32 v28, v28, v27
	v_mul_f16_e64 v147, 0x3b76, v147
	v_mul_f16_e64 v146, 0x39e9, v146
	;; [unrolled: 1-line block ×3, first 2 shown]
	v_add_f16_e64 v161, v163, v161
	v_mul_f16_e64 v163, 0xbacd, v140
	v_add_f16_e32 v28, v31, v28
	v_add_f16_e32 v31, v110, v97
	v_fma_f16 v199, 0x35c8, v116, v147
	v_fma_f16 v201, 0x3964, v115, v146
	;; [unrolled: 1-line block ×3, first 2 shown]
	v_add_f16_e32 v28, v32, v28
	v_add_f16_e32 v31, v109, v31
	v_add_f16_e64 v199, v97, v199
	v_add_f16_e64 v212, v214, v212
	;; [unrolled: 1-line block ×4, first 2 shown]
	v_fma_f16 v182, 0x3a62, v111, v186
	v_mul_f16_e64 v185, 0xbbdd, v134
	v_add_f16_e32 v28, v33, v28
	v_add_f16_e32 v31, v108, v31
	v_mul_f16_e64 v134, 0x2de8, v134
	v_add_f16_e64 v181, v182, v181
	v_fma_f16 v182, 0x31e1, v112, v185
	v_add_f16_e32 v28, v34, v28
	v_add_f16_e32 v31, v107, v31
	v_fma_f16 v214, v132, 0xb8d2, -v215
	v_fma_f16 v110, 0x3bf7, v112, v134
	v_add_f16_e64 v181, v182, v181
	v_fma_f16 v182, 0xb836, v113, v188
	v_mul_f16_e64 v132, 0xb461, v132
	v_mul_f16_e64 v33, 0xb5c8, v135
	v_add_f16_e32 v28, v29, v28
	v_add_f16_e32 v29, v106, v31
	v_add_f16_e64 v181, v182, v181
	v_fma_f16 v182, 0xbbb2, v114, v192
	v_fma_f16 v109, 0x3bb2, v113, v132
	v_mul_f16_e64 v108, 0xb8d2, v131
	v_fmamk_f16 v34, v118, 0x3b76, v33
	v_mul_f16_e64 v107, 0xb964, v136
	v_add_f16_e64 v181, v182, v181
	v_fma_f16 v182, 0xbb29, v117, v195
	v_add_f16_e32 v28, v30, v28
	v_add_f16_e32 v29, v105, v29
	;; [unrolled: 1-line block ×3, first 2 shown]
	v_fmamk_f16 v34, v119, 0x39e9, v107
	v_add_f16_e64 v181, v182, v181
	v_mul_f16_e64 v182, 0x3b76, v140
	v_mul_f16_e64 v106, 0xbb29, v137
	v_add_f16_e32 v28, v37, v28
	v_add_f16_e32 v29, v98, v29
	v_add_f16_e32 v31, v34, v31
	v_fma_f16 v198, 0xb5c8, v120, v182
	v_mul_f16_e64 v34, 0xbbf7, v139
	v_add_f16_e32 v28, v38, v28
	v_add_f16_e32 v29, v104, v29
	v_mul_f16_e64 v38, 0xbbb2, v141
	v_add_f16_e64 v181, v198, v181
	v_add_f16_e64 v198, v201, v199
	v_fma_f16 v199, 0x3b29, v111, v145
	v_add_f16_e32 v28, v39, v28
	v_add_f16_e32 v29, v103, v29
	v_mul_f16_e64 v39, 0xba62, v142
	v_fmac_f16_e64 v170, 0xbacd, v125
	v_add_f16_e64 v198, v199, v198
	v_add_f16_e32 v28, v40, v28
	v_add_f16_e32 v29, v102, v29
	v_fma_f16 v162, v140, 0x39e9, -v162
	v_add_f16_e64 v158, v170, v158
	v_add_f16_e64 v32, v110, v198
	v_add_f16_e32 v28, v35, v28
	v_add_f16_e32 v29, v101, v29
	v_mul_f16_e64 v35, 0xb836, v144
	v_fmac_f16_e64 v171, 0xb8d2, v126
	v_add_f16_e32 v32, v109, v32
	v_fmamk_f16 v109, v114, 0x3a62, v108
	v_add_f16_e64 v157, v162, v157
	v_mul_f16_e64 v162, 0xbb29, v135
	v_add_f16_e32 v28, v36, v28
	v_add_f16_e32 v29, v100, v29
	v_add_f16_e32 v30, v109, v32
	v_fmamk_f16 v32, v121, 0x3722, v106
	v_mul_f16_e64 v36, 0xb1e1, v148
	v_mul_f16_e64 v230, 0xba62, v141
	v_fmac_f16_e64 v175, 0xb8d2, v127
	v_add_f16_e64 v158, v171, v158
	v_add_f16_e32 v31, v32, v31
	v_fmamk_f16 v32, v122, 0x2de8, v34
	v_fma_f16 v170, 0x3722, v118, v162
	v_mul_f16_e64 v171, 0xba62, v136
	v_add_f16_e32 v17, v17, v28
	v_add_f16_e32 v28, v99, v29
	;; [unrolled: 1-line block ×3, first 2 shown]
	v_fmamk_f16 v32, v123, 0xb461, v38
	v_fma_f16 v232, v123, 0xb8d2, -v230
	v_mul_f16_e64 v233, 0x3b29, v142
	v_add_f16_e64 v160, v175, v160
	v_add_f16_e64 v170, v27, v170
	v_add_f16_e32 v31, v32, v31
	v_fmamk_f16 v32, v125, 0xb8d2, v39
	v_fma_f16 v175, 0xb8d2, v119, v171
	v_mul_f16_e64 v176, 0x31e1, v137
	v_add_f16_e32 v17, v18, v17
	v_add_f16_e32 v18, v49, v28
	;; [unrolled: 1-line block ×3, first 2 shown]
	v_fmamk_f16 v32, v126, 0xbacd, v35
	v_add_f16_e64 v216, v232, v224
	v_fma_f16 v219, v125, 0x3722, -v233
	v_mul_f16_e64 v224, 0xbbb2, v144
	v_fmac_f16_e64 v165, 0x39e9, v127
	v_add_f16_e32 v29, v32, v31
	v_fmamk_f16 v31, v127, 0xbbdd, v36
	v_add_f16_e64 v170, v175, v170
	v_fma_f16 v175, 0xbbdd, v121, v176
	v_mul_f16_e64 v178, 0x3bb2, v139
	v_fma_f16 v32, v119, 0xb8d2, -v171
	v_add_f16_e32 v28, v31, v29
	v_fma_f16 v29, v118, 0x3722, -v162
	v_fmac_f16_e64 v179, 0xb964, v116
	v_add_f16_e64 v216, v219, v216
	v_fma_f16 v219, v126, 0xb461, -v224
	v_fmac_f16_e64 v226, 0x3b76, v119
	v_add_f16_e32 v29, v27, v29
	v_add_f16_e64 v158, v165, v158
	v_add_f16_e64 v165, v175, v170
	v_fma_f16 v170, 0xb461, v122, v178
	v_mul_f16_e64 v175, 0x3964, v141
	v_add_f16_e32 v17, v45, v17
	v_add_f16_e32 v29, v32, v29
	v_fma_f16 v32, v121, 0xbbdd, -v176
	v_add_f16_e64 v45, v97, v179
	v_fmac_f16_e64 v183, 0xbbf7, v115
	v_add_f16_e64 v215, v219, v216
	v_add_f16_e64 v219, v226, v221
	v_fmac_f16_e64 v229, 0xbacd, v121
	v_add_f16_e64 v165, v170, v165
	v_fma_f16 v170, 0x39e9, v123, v175
	v_mul_f16_e64 v180, 0xb5c8, v142
	v_add_f16_e32 v29, v32, v29
	v_fma_f16 v32, v122, 0xb461, -v178
	v_add_f16_e64 v45, v183, v45
	v_fmac_f16_e64 v186, 0xba62, v111
	v_add_f16_e64 v212, v214, v212
	v_fma_f16 v214, v131, 0x3722, -v223
	v_add_f16_e64 v219, v229, v219
	v_fmac_f16_e64 v225, 0x39e9, v122
	v_add_f16_e64 v165, v170, v165
	v_fma_f16 v170, 0x3b76, v125, v180
	v_mul_f16_e64 v184, 0xbbf7, v144
	v_mul_f16_e64 v187, 0xb964, v135
	v_add_f16_e32 v29, v32, v29
	v_fma_f16 v32, v123, 0x39e9, -v175
	v_add_f16_e64 v45, v186, v45
	v_fmac_f16_e64 v185, 0xb1e1, v112
	v_add_f16_e64 v212, v214, v212
	v_fma_f16 v214, v138, 0xb461, -v227
	v_add_f16_e64 v219, v225, v219
	v_fmac_f16_e64 v230, 0xb8d2, v123
	v_add_f16_e64 v165, v170, v165
	v_fma_f16 v170, 0x2de8, v126, v184
	v_fma_f16 v190, 0x39e9, v118, v187
	v_mul_f16_e64 v191, 0xbbf7, v136
	v_add_f16_e32 v29, v32, v29
	v_fma_f16 v32, v125, 0x3b76, -v180
	v_add_f16_e64 v45, v185, v45
	v_fmac_f16_e64 v188, 0x3836, v113
	v_add_f16_e64 v212, v214, v212
	v_add_f16_e64 v214, v230, v219
	v_fmac_f16_e64 v233, 0x3722, v125
	v_add_f16_e64 v165, v170, v165
	v_mul_f16_e64 v170, 0xb836, v148
	v_add_f16_e64 v190, v27, v190
	v_fma_f16 v193, 0x2de8, v119, v191
	v_mul_f16_e64 v194, 0xba62, v137
	v_add_f16_e32 v18, v47, v18
	v_add_f16_e32 v29, v32, v29
	v_fma_f16 v32, v126, 0x2de8, -v184
	v_add_f16_e64 v45, v188, v45
	v_fmac_f16_e64 v192, 0x3bb2, v114
	v_mul_f16_e64 v216, 0x3bf7, v148
	v_add_f16_e64 v203, v233, v214
	v_fmac_f16_e64 v224, 0xb461, v126
	v_fma_f16 v189, 0xbacd, v127, v170
	v_add_f16_e64 v190, v193, v190
	v_fma_f16 v193, 0xb8d2, v121, v194
	v_mul_f16_e64 v196, 0xb1e1, v139
	v_add_f16_e32 v18, v46, v18
	v_add_f16_e32 v29, v32, v29
	v_fma_f16 v32, v127, 0xbacd, -v170
	v_add_f16_e64 v45, v192, v45
	v_fmac_f16_e64 v195, 0x3b29, v117
	v_fma_f16 v46, v118, 0x39e9, -v187
	v_fmac_f16_e64 v159, 0xbb29, v116
	v_fmac_f16_e64 v147, 0xb5c8, v116
	v_fma_f16 v33, v118, 0x3b76, -v33
	v_fma_f16 v221, v127, 0x2de8, -v216
	v_add_f16_e64 v203, v224, v203
	v_fmac_f16_e64 v216, 0x2de8, v127
	v_add_f16_e64 v165, v189, v165
	v_add_f16_e64 v189, v193, v190
	v_fma_f16 v190, 0xbbdd, v122, v196
	v_mul_f16_e64 v193, 0x3836, v141
	v_add_f16_e32 v29, v32, v29
	v_add_f16_e64 v32, v195, v45
	v_add_f16_e32 v45, v27, v46
	v_fma_f16 v46, v119, 0x2de8, -v191
	v_add_f16_e64 v31, v97, v159
	v_fmac_f16_e64 v166, 0xba62, v115
	v_add_f16_e64 v47, v97, v147
	v_fmac_f16_e64 v146, 0xb964, v115
	v_add_f16_e32 v27, v27, v33
	v_fma_f16 v33, v119, 0x39e9, -v107
	v_add_f16_e64 v154, v216, v203
	v_fma_f16 v203, v140, 0xb461, -v210
	v_add_f16_e64 v189, v190, v189
	v_fma_f16 v190, 0xbacd, v123, v193
	v_mul_f16_e64 v197, 0x3bb2, v142
	v_add_f16_e32 v45, v46, v45
	v_fma_f16 v46, v121, 0xb8d2, -v194
	v_add_f16_e64 v31, v166, v31
	v_fmac_f16_e64 v164, 0x31e1, v111
	v_add_f16_e64 v47, v146, v47
	v_fmac_f16_e64 v145, 0xbb29, v111
	v_add_f16_e32 v27, v33, v27
	v_fma_f16 v33, v121, 0x3722, -v106
	v_add_f16_e64 v169, v203, v200
	v_add_f16_e64 v189, v190, v189
	v_fma_f16 v190, 0xb461, v125, v197
	v_mul_f16_e64 v200, 0x3b29, v144
	v_add_f16_e32 v45, v46, v45
	v_fma_f16 v46, v122, 0xbbdd, -v196
	v_add_f16_e64 v31, v164, v31
	v_fmac_f16_e64 v167, 0x3bb2, v112
	v_add_f16_e64 v47, v145, v47
	v_fmac_f16_e64 v134, 0xbbf7, v112
	v_add_f16_e32 v27, v33, v27
	v_fma_f16 v33, v122, 0x2de8, -v34
	v_mul_f16_e64 v37, 0xbacd, v138
	v_add_f16_e64 v189, v190, v189
	v_fma_f16 v190, 0x3722, v126, v200
	v_add_f16_e32 v45, v46, v45
	v_fma_f16 v46, v123, 0xbacd, -v193
	v_add_f16_e64 v31, v167, v31
	v_fmac_f16_e64 v168, 0x3964, v113
	v_add_f16_e64 v47, v134, v47
	v_fmac_f16_e64 v132, 0xbbb2, v113
	v_add_f16_e32 v27, v33, v27
	v_fma_f16 v33, v123, 0xb461, -v38
	v_fmamk_f16 v98, v117, 0x3836, v37
	v_mul_f16_e64 v40, 0xbbdd, v140
	v_add_f16_e64 v189, v190, v189
	v_mul_f16_e64 v190, 0x35c8, v148
	v_add_f16_e32 v34, v46, v45
	v_fma_f16 v45, v125, 0xb461, -v197
	v_add_f16_e64 v31, v168, v31
	v_fmac_f16_e64 v174, 0xb5c8, v114
	v_add_f16_e64 v46, v132, v47
	v_fmac_f16_e32 v108, 0xba62, v114
	v_add_f16_e32 v27, v33, v27
	v_fma_f16 v33, v125, 0xb8d2, -v39
	v_add_f16_e32 v30, v98, v30
	v_fmamk_f16 v98, v120, 0x31e1, v40
	v_fma_f16 v199, 0x3b76, v127, v190
	v_add_f16_e32 v34, v45, v34
	v_fma_f16 v38, v126, 0x3722, -v200
	v_add_f16_e64 v31, v174, v31
	v_fmac_f16_e64 v177, 0xbbf7, v117
	v_add_f16_e32 v45, v108, v46
	v_fmac_f16_e32 v37, 0xb836, v117
	v_add_f16_e32 v27, v33, v27
	v_fma_f16 v33, v126, 0xbacd, -v35
	v_add_f16_e64 v152, v221, v215
	v_fma_f16 v215, v140, 0x2de8, -v228
	v_add_f16_e32 v30, v98, v30
	v_and_b32_e32 v35, 0xffff, v44
	v_add_f16_e64 v110, v199, v189
	v_add_f16_e32 v34, v38, v34
	v_fma_f16 v38, v127, 0x3b76, -v190
	v_add_f16_e64 v31, v177, v31
	v_fmac_f16_e64 v163, 0xb836, v120
	v_fmac_f16_e64 v182, 0x35c8, v120
	v_add_f16_e32 v37, v37, v45
	v_fmac_f16_e32 v40, 0xb1e1, v120
	v_add_f16_e32 v27, v33, v27
	v_fma_f16 v33, v127, 0xbbdd, -v36
	v_add_f16_e64 v153, v215, v212
	v_lshlrev_b32_e32 v35, 2, v35
	v_pack_b32_f16 v28, v28, v30
	v_pack_b32_f16 v17, v17, v18
	;; [unrolled: 1-line block ×4, first 2 shown]
	v_add_f16_e32 v34, v38, v34
	v_pack_b32_f16 v36, v160, v155
	v_pack_b32_f16 v38, v158, v157
	v_add_f16_e64 v31, v163, v31
	v_add_f16_e64 v32, v182, v32
	v_add_f16_e32 v37, v40, v37
	v_pack_b32_f16 v39, v172, v169
	v_pack_b32_f16 v40, v156, v173
	v_add_f16_e32 v27, v33, v27
	ds_store_2addr_b32 v35, v17, v28 offset1:1
	ds_store_2addr_b32 v35, v30, v18 offset0:2 offset1:3
	ds_store_2addr_b32 v35, v38, v36 offset0:4 offset1:5
	;; [unrolled: 1-line block ×3, first 2 shown]
	v_pack_b32_f16 v17, v152, v151
	v_pack_b32_f16 v18, v154, v153
	;; [unrolled: 1-line block ×9, first 2 shown]
	ds_store_2addr_b32 v35, v18, v17 offset0:8 offset1:9
	ds_store_2addr_b32 v35, v30, v28 offset0:10 offset1:11
	;; [unrolled: 1-line block ×4, first 2 shown]
	ds_store_b32 v35, v27 offset:64
.LBB0_13:
	s_wait_alu 0xfffe
	s_or_b32 exec_lo, exec_lo, s0
	v_add_nc_u32_e32 v17, 0xa00, v48
	v_add_nc_u32_e32 v18, 0xe00, v48
	global_wb scope:SCOPE_SE
	s_wait_dscnt 0x0
	s_barrier_signal -1
	s_barrier_wait -1
	global_inv scope:SCOPE_SE
	ds_load_2addr_b32 v[31:32], v48 offset1:119
	ds_load_2addr_b32 v[33:34], v17 offset0:74 offset1:193
	ds_load_2addr_b32 v[35:36], v18 offset0:56 offset1:175
	v_add_nc_u32_e32 v28, 0x200, v48
	v_add_nc_u32_e32 v27, 0x1200, v48
	;; [unrolled: 1-line block ×4, first 2 shown]
	ds_load_2addr_b32 v[37:38], v28 offset0:110 offset1:229
	ds_load_2addr_b32 v[39:40], v27 offset0:38 offset1:157
	;; [unrolled: 1-line block ×4, first 2 shown]
	global_wb scope:SCOPE_SE
	s_wait_dscnt 0x0
	s_barrier_signal -1
	s_barrier_wait -1
	global_inv scope:SCOPE_SE
	v_lshrrev_b32_e32 v49, 16, v31
	v_lshrrev_b32_e32 v98, 16, v34
	;; [unrolled: 1-line block ×3, first 2 shown]
	v_mul_f16_e32 v108, v72, v34
	v_lshrrev_b32_e32 v101, 16, v36
	v_lshrrev_b32_e32 v97, 16, v32
	v_mul_f16_e32 v72, v72, v98
	v_lshrrev_b32_e32 v103, 16, v39
	v_mul_f16_e32 v110, v71, v99
	v_lshrrev_b32_e32 v105, 16, v40
	v_fma_f16 v98, v56, v98, -v108
	v_fmac_f16_e32 v72, v56, v34
	v_mul_f16_e32 v34, v71, v35
	v_fmac_f16_e32 v110, v55, v35
	v_mul_f16_e32 v35, v70, v101
	v_mul_f16_e32 v56, v70, v36
	;; [unrolled: 1-line block ×3, first 2 shown]
	v_lshrrev_b32_e32 v107, 16, v46
	v_fma_f16 v34, v55, v99, -v34
	v_mul_f16_e32 v55, v69, v39
	v_lshrrev_b32_e32 v111, 16, v47
	v_fmac_f16_e32 v70, v53, v39
	v_mul_f16_e32 v39, v68, v105
	v_fmac_f16_e32 v35, v54, v36
	v_fma_f16 v36, v54, v101, -v56
	v_fma_f16 v53, v53, v103, -v55
	v_mul_f16_e32 v55, v67, v107
	v_mul_f16_e32 v56, v67, v46
	;; [unrolled: 1-line block ×3, first 2 shown]
	v_fmac_f16_e32 v39, v52, v40
	v_mul_f16_e32 v40, v66, v111
	v_fmac_f16_e32 v55, v51, v46
	v_fma_f16 v46, v51, v107, -v56
	v_mul_f16_e32 v51, v66, v47
	v_lshrrev_b32_e32 v100, 16, v37
	v_fma_f16 v52, v52, v105, -v54
	v_fmac_f16_e32 v40, v50, v47
	v_sub_f16_e32 v47, v31, v72
	v_sub_f16_e32 v54, v49, v98
	v_lshrrev_b32_e32 v102, 16, v38
	v_sub_f16_e32 v56, v32, v110
	v_sub_f16_e32 v34, v97, v34
	v_lshrrev_b32_e32 v104, 16, v44
	v_lshrrev_b32_e32 v106, 16, v45
	;; [unrolled: 1-line block ×3, first 2 shown]
	v_fma_f16 v50, v50, v111, -v51
	v_fma_f16 v31, v31, 2.0, -v47
	v_fma_f16 v49, v49, 2.0, -v54
	v_sub_f16_e32 v35, v37, v35
	v_sub_f16_e32 v36, v100, v36
	v_fma_f16 v32, v32, 2.0, -v56
	v_fma_f16 v51, v97, 2.0, -v34
	v_sub_f16_e32 v66, v38, v70
	v_sub_f16_e32 v53, v102, v53
	;; [unrolled: 1-line block ×8, first 2 shown]
	v_fma_f16 v37, v37, 2.0, -v35
	v_fma_f16 v67, v100, 2.0, -v36
	v_pack_b32_f16 v31, v31, v49
	v_pack_b32_f16 v47, v47, v54
	v_fma_f16 v38, v38, 2.0, -v66
	v_fma_f16 v68, v102, 2.0, -v53
	v_pack_b32_f16 v32, v32, v51
	v_pack_b32_f16 v34, v56, v34
	v_fma_f16 v44, v44, 2.0, -v39
	v_fma_f16 v69, v104, 2.0, -v52
	;; [unrolled: 1-line block ×6, first 2 shown]
	ds_store_2addr_b32 v57, v31, v47 offset1:17
	ds_store_2addr_b32 v63, v32, v34 offset1:17
	v_pack_b32_f16 v31, v37, v67
	v_pack_b32_f16 v32, v35, v36
	v_pack_b32_f16 v34, v38, v68
	v_pack_b32_f16 v35, v66, v53
	v_pack_b32_f16 v36, v44, v69
	v_pack_b32_f16 v37, v39, v52
	v_pack_b32_f16 v38, v45, v70
	v_pack_b32_f16 v39, v55, v46
	v_pack_b32_f16 v33, v33, v71
	v_pack_b32_f16 v40, v40, v50
	ds_store_2addr_b32 v58, v31, v32 offset1:17
	ds_store_2addr_b32 v59, v34, v35 offset1:17
	;; [unrolled: 1-line block ×5, first 2 shown]
	global_wb scope:SCOPE_SE
	s_wait_dscnt 0x0
	s_barrier_signal -1
	s_barrier_wait -1
	global_inv scope:SCOPE_SE
	ds_load_2addr_b32 v[31:32], v48 offset1:119
	ds_load_2addr_b32 v[33:34], v28 offset0:110 offset1:229
	ds_load_2addr_b32 v[35:36], v29 offset0:92 offset1:211
	;; [unrolled: 1-line block ×6, first 2 shown]
	global_wb scope:SCOPE_SE
	s_wait_dscnt 0x0
	s_barrier_signal -1
	s_barrier_wait -1
	global_inv scope:SCOPE_SE
	v_lshrrev_b32_e32 v49, 16, v31
	v_lshrrev_b32_e32 v50, 16, v33
	;; [unrolled: 1-line block ×6, first 2 shown]
	v_mul_f16_e32 v62, v84, v50
	v_mul_f16_e32 v63, v84, v33
	;; [unrolled: 1-line block ×3, first 2 shown]
	v_lshrrev_b32_e32 v55, 16, v46
	v_lshrrev_b32_e32 v57, 16, v34
	v_mul_f16_e32 v67, v83, v35
	v_fmac_f16_e32 v62, v4, v33
	v_fma_f16 v4, v4, v50, -v63
	v_fmac_f16_e32 v66, v5, v35
	v_mul_f16_e32 v33, v82, v52
	v_mul_f16_e32 v35, v82, v37
	;; [unrolled: 1-line block ×4, first 2 shown]
	v_lshrrev_b32_e32 v58, 16, v36
	v_lshrrev_b32_e32 v59, 16, v38
	v_fma_f16 v5, v5, v51, -v67
	v_mul_f16_e32 v51, v81, v39
	v_fmac_f16_e32 v33, v6, v37
	v_fma_f16 v6, v6, v52, -v35
	v_fmac_f16_e32 v50, v7, v39
	v_fmac_f16_e32 v63, v21, v44
	v_mul_f16_e32 v35, v80, v44
	v_mul_f16_e32 v37, v79, v55
	;; [unrolled: 1-line block ×4, first 2 shown]
	v_lshrrev_b32_e32 v60, 16, v40
	v_lshrrev_b32_e32 v61, 16, v45
	v_fma_f16 v7, v7, v53, -v51
	v_mul_f16_e32 v51, v78, v34
	v_fma_f16 v21, v21, v54, -v35
	v_fmac_f16_e32 v37, v22, v46
	v_fma_f16 v22, v22, v55, -v39
	v_fmac_f16_e32 v44, v0, v34
	v_mul_f16_e32 v34, v77, v58
	v_mul_f16_e32 v35, v77, v36
	;; [unrolled: 1-line block ×3, first 2 shown]
	v_lshrrev_b32_e32 v68, 16, v47
	v_fma_f16 v0, v0, v57, -v51
	v_mul_f16_e32 v46, v76, v38
	v_mul_f16_e32 v51, v75, v60
	v_fmac_f16_e32 v34, v1, v36
	v_fma_f16 v1, v1, v58, -v35
	v_fmac_f16_e32 v39, v2, v38
	v_mul_f16_e32 v35, v75, v40
	v_mul_f16_e32 v36, v74, v61
	;; [unrolled: 1-line block ×3, first 2 shown]
	v_fma_f16 v2, v2, v59, -v46
	v_fmac_f16_e32 v51, v3, v40
	v_mul_f16_e32 v40, v73, v68
	v_mul_f16_e32 v46, v73, v47
	v_fma_f16 v3, v3, v60, -v35
	v_fmac_f16_e32 v36, v19, v45
	v_fma_f16 v19, v19, v61, -v38
	v_add_f16_e32 v35, v62, v37
	v_add_f16_e32 v38, v4, v22
	v_sub_f16_e32 v4, v4, v22
	v_add_f16_e32 v22, v66, v63
	v_add_f16_e32 v45, v5, v21
	v_fmac_f16_e32 v40, v20, v47
	v_fma_f16 v20, v20, v68, -v46
	v_sub_f16_e32 v37, v62, v37
	v_sub_f16_e32 v46, v66, v63
	;; [unrolled: 1-line block ×3, first 2 shown]
	v_add_f16_e32 v21, v33, v50
	v_add_f16_e32 v47, v6, v7
	v_sub_f16_e32 v33, v50, v33
	v_sub_f16_e32 v6, v7, v6
	v_add_f16_e32 v7, v22, v35
	v_add_f16_e32 v50, v45, v38
	v_sub_f16_e32 v52, v22, v35
	v_sub_f16_e32 v53, v45, v38
	;; [unrolled: 1-line block ×6, first 2 shown]
	v_add_f16_e32 v54, v33, v46
	v_add_f16_e32 v55, v6, v5
	v_sub_f16_e32 v57, v33, v46
	v_sub_f16_e32 v58, v6, v5
	;; [unrolled: 1-line block ×3, first 2 shown]
	v_add_f16_e32 v7, v21, v7
	v_add_f16_e32 v21, v47, v50
	v_sub_f16_e32 v5, v5, v4
	v_sub_f16_e32 v33, v37, v33
	;; [unrolled: 1-line block ×3, first 2 shown]
	v_add_f16_e32 v37, v54, v37
	v_add_f16_e32 v4, v55, v4
	;; [unrolled: 1-line block ×4, first 2 shown]
	v_mul_f16_e32 v35, 0x3a52, v35
	v_mul_f16_e32 v38, 0x3a52, v38
	;; [unrolled: 1-line block ×8, first 2 shown]
	v_fmamk_f16 v7, v7, 0xbcab, v31
	v_fmamk_f16 v21, v21, 0xbcab, v47
	;; [unrolled: 1-line block ×4, first 2 shown]
	v_fma_f16 v49, v52, 0x39e0, -v49
	v_fma_f16 v50, v53, 0x39e0, -v50
	;; [unrolled: 1-line block ×4, first 2 shown]
	v_fmamk_f16 v52, v33, 0xb574, v54
	v_fmamk_f16 v53, v6, 0xb574, v55
	v_fma_f16 v33, v33, 0x3574, -v57
	v_fma_f16 v6, v6, 0x3574, -v58
	v_fma_f16 v46, v46, 0xbb00, -v54
	v_fma_f16 v5, v5, 0xbb00, -v55
	v_add_f16_e32 v22, v22, v7
	v_add_f16_e32 v45, v45, v21
	;; [unrolled: 1-line block ×6, first 2 shown]
	v_fmac_f16_e32 v52, 0xb70e, v37
	v_fmac_f16_e32 v53, 0xb70e, v4
	;; [unrolled: 1-line block ×6, first 2 shown]
	v_add_f16_e32 v4, v53, v22
	v_sub_f16_e32 v35, v45, v52
	v_add_f16_e32 v37, v6, v7
	v_sub_f16_e32 v38, v21, v33
	v_sub_f16_e32 v6, v7, v6
	v_add_f16_e32 v7, v33, v21
	v_sub_f16_e32 v21, v22, v53
	v_add_f16_e32 v22, v52, v45
	v_add_f16_e32 v33, v44, v40
	v_add_f16_e32 v45, v0, v20
	v_sub_f16_e32 v40, v44, v40
	v_sub_f16_e32 v0, v0, v20
	v_add_f16_e32 v20, v34, v36
	v_add_f16_e32 v44, v1, v19
	v_sub_f16_e32 v54, v49, v5
	v_add_f16_e32 v5, v5, v49
	v_sub_f16_e32 v34, v34, v36
	v_sub_f16_e32 v1, v1, v19
	v_add_f16_e32 v19, v39, v51
	v_add_f16_e32 v36, v2, v3
	v_sub_f16_e32 v39, v51, v39
	v_sub_f16_e32 v2, v3, v2
	v_add_f16_e32 v3, v20, v33
	v_add_f16_e32 v49, v44, v45
	v_lshrrev_b32_e32 v56, 16, v32
	v_add_f16_e32 v55, v46, v50
	v_sub_f16_e32 v46, v50, v46
	v_sub_f16_e32 v50, v20, v33
	;; [unrolled: 1-line block ×7, first 2 shown]
	v_add_f16_e32 v52, v39, v34
	v_add_f16_e32 v53, v2, v1
	v_sub_f16_e32 v57, v39, v34
	v_sub_f16_e32 v58, v2, v1
	v_add_f16_e32 v3, v19, v3
	v_add_f16_e32 v19, v36, v49
	v_sub_f16_e32 v34, v34, v40
	v_sub_f16_e32 v1, v1, v0
	;; [unrolled: 1-line block ×4, first 2 shown]
	v_add_f16_e32 v36, v52, v40
	v_add_f16_e32 v0, v53, v0
	;; [unrolled: 1-line block ×4, first 2 shown]
	v_mul_f16_e32 v33, 0x3a52, v33
	v_mul_f16_e32 v45, 0x3a52, v45
	;; [unrolled: 1-line block ×8, first 2 shown]
	v_fmamk_f16 v3, v3, 0xbcab, v32
	v_fmamk_f16 v19, v19, 0xbcab, v40
	;; [unrolled: 1-line block ×4, first 2 shown]
	v_fma_f16 v49, v50, 0x39e0, -v49
	v_fma_f16 v52, v51, 0x39e0, -v52
	;; [unrolled: 1-line block ×4, first 2 shown]
	v_fmamk_f16 v50, v39, 0xb574, v53
	v_fmamk_f16 v51, v2, 0xb574, v56
	v_fma_f16 v34, v34, 0xbb00, -v53
	v_fma_f16 v1, v1, 0xbb00, -v56
	;; [unrolled: 1-line block ×4, first 2 shown]
	v_add_f16_e32 v20, v20, v3
	v_add_f16_e32 v44, v44, v19
	v_fmac_f16_e32 v50, 0xb70e, v36
	v_fmac_f16_e32 v51, 0xb70e, v0
	v_add_f16_e32 v49, v49, v3
	v_add_f16_e32 v52, v52, v19
	;; [unrolled: 1-line block ×4, first 2 shown]
	v_fmac_f16_e32 v34, 0xb70e, v36
	v_fmac_f16_e32 v2, 0xb70e, v0
	;; [unrolled: 1-line block ×4, first 2 shown]
	v_pack_b32_f16 v31, v31, v47
	v_pack_b32_f16 v4, v4, v35
	v_add_f16_e32 v0, v51, v20
	v_sub_f16_e32 v33, v44, v50
	v_pack_b32_f16 v35, v37, v38
	v_pack_b32_f16 v37, v54, v55
	v_add_f16_e32 v36, v2, v3
	v_sub_f16_e32 v45, v19, v39
	v_sub_f16_e32 v53, v49, v1
	v_add_f16_e32 v56, v34, v52
	v_pack_b32_f16 v5, v5, v46
	v_pack_b32_f16 v6, v6, v7
	v_add_f16_e32 v1, v1, v49
	v_sub_f16_e32 v34, v52, v34
	v_sub_f16_e32 v2, v3, v2
	v_add_f16_e32 v3, v39, v19
	v_sub_f16_e32 v19, v20, v51
	v_add_f16_e32 v20, v50, v44
	ds_store_2addr_b32 v65, v31, v4 offset1:34
	ds_store_2addr_b32 v65, v35, v37 offset0:68 offset1:102
	ds_store_2addr_b32 v65, v5, v6 offset0:136 offset1:170
	v_pack_b32_f16 v4, v21, v22
	v_pack_b32_f16 v5, v32, v40
	;; [unrolled: 1-line block ×8, first 2 shown]
	ds_store_b32 v65, v4 offset:816
	ds_store_2addr_b32 v64, v5, v0 offset1:34
	ds_store_2addr_b32 v64, v6, v7 offset0:68 offset1:102
	ds_store_2addr_b32 v64, v1, v2 offset0:136 offset1:170
	ds_store_b32 v64, v3 offset:816
	global_wb scope:SCOPE_SE
	s_wait_dscnt 0x0
	s_barrier_signal -1
	s_barrier_wait -1
	global_inv scope:SCOPE_SE
	ds_load_2addr_b32 v[0:1], v48 offset1:119
	ds_load_2addr_b32 v[2:3], v28 offset0:110 offset1:229
	ds_load_2addr_b32 v[4:5], v29 offset0:92 offset1:211
	;; [unrolled: 1-line block ×6, first 2 shown]
	s_wait_dscnt 0x6
	v_lshrrev_b32_e32 v33, 16, v0
	s_wait_dscnt 0x5
	v_lshrrev_b32_e32 v34, 16, v2
	;; [unrolled: 2-line block ×6, first 2 shown]
	v_mul_f16_e32 v50, v96, v34
	v_mul_f16_e32 v51, v96, v2
	;; [unrolled: 1-line block ×4, first 2 shown]
	s_wait_dscnt 0x0
	v_lshrrev_b32_e32 v39, 16, v31
	v_lshrrev_b32_e32 v44, 16, v3
	v_fmac_f16_e32 v50, v12, v2
	v_fma_f16 v2, v12, v34, -v51
	v_fmac_f16_e32 v52, v13, v4
	v_fma_f16 v4, v13, v35, -v53
	v_mul_f16_e32 v12, v94, v36
	v_mul_f16_e32 v13, v94, v6
	;; [unrolled: 1-line block ×5, first 2 shown]
	v_lshrrev_b32_e32 v45, 16, v5
	v_lshrrev_b32_e32 v46, 16, v7
	;; [unrolled: 1-line block ×3, first 2 shown]
	v_fmac_f16_e32 v12, v14, v6
	v_fma_f16 v6, v14, v36, -v13
	v_fmac_f16_e32 v34, v15, v19
	v_fma_f16 v13, v15, v37, -v35
	v_fmac_f16_e32 v51, v23, v21
	v_mul_f16_e32 v14, v92, v21
	v_mul_f16_e32 v15, v91, v39
	;; [unrolled: 1-line block ×5, first 2 shown]
	v_lshrrev_b32_e32 v49, 16, v22
	v_lshrrev_b32_e32 v54, 16, v32
	v_fma_f16 v14, v23, v38, -v14
	v_fmac_f16_e32 v15, v24, v31
	v_fma_f16 v19, v24, v39, -v19
	v_fmac_f16_e32 v21, v8, v3
	v_fma_f16 v3, v8, v44, -v35
	v_mul_f16_e32 v8, v89, v45
	v_mul_f16_e32 v23, v89, v5
	v_mul_f16_e32 v24, v88, v46
	v_mul_f16_e32 v31, v88, v7
	v_mul_f16_e32 v35, v87, v47
	v_fmac_f16_e32 v8, v9, v5
	v_fma_f16 v5, v9, v45, -v23
	v_fmac_f16_e32 v24, v10, v7
	v_fma_f16 v7, v10, v46, -v31
	v_fmac_f16_e32 v35, v11, v20
	v_mul_f16_e32 v9, v87, v20
	v_mul_f16_e32 v10, v86, v49
	;; [unrolled: 1-line block ×5, first 2 shown]
	v_fma_f16 v9, v11, v47, -v9
	v_fmac_f16_e32 v10, v25, v22
	v_fma_f16 v11, v25, v49, -v20
	v_fmac_f16_e32 v23, v26, v32
	v_fma_f16 v20, v26, v54, -v31
	v_add_f16_e32 v22, v50, v15
	v_add_f16_e32 v25, v2, v19
	v_sub_f16_e32 v2, v2, v19
	v_add_f16_e32 v19, v52, v51
	v_add_f16_e32 v26, v4, v14
	v_sub_f16_e32 v15, v50, v15
	v_sub_f16_e32 v31, v52, v51
	;; [unrolled: 1-line block ×3, first 2 shown]
	v_add_f16_e32 v14, v12, v34
	v_add_f16_e32 v32, v6, v13
	v_sub_f16_e32 v12, v34, v12
	v_sub_f16_e32 v6, v13, v6
	v_add_f16_e32 v13, v19, v22
	v_add_f16_e32 v34, v26, v25
	v_sub_f16_e32 v36, v19, v22
	v_sub_f16_e32 v37, v26, v25
	;; [unrolled: 1-line block ×6, first 2 shown]
	v_add_f16_e32 v38, v12, v31
	v_add_f16_e32 v39, v6, v4
	v_sub_f16_e32 v44, v12, v31
	v_sub_f16_e32 v45, v6, v4
	v_sub_f16_e32 v31, v31, v15
	v_add_f16_e32 v13, v14, v13
	v_add_f16_e32 v14, v32, v34
	v_sub_f16_e32 v4, v4, v2
	v_sub_f16_e32 v12, v15, v12
	;; [unrolled: 1-line block ×3, first 2 shown]
	v_add_f16_e32 v15, v38, v15
	v_add_f16_e32 v2, v39, v2
	;; [unrolled: 1-line block ×4, first 2 shown]
	v_mul_f16_e32 v22, 0x3a52, v22
	v_mul_f16_e32 v25, 0x3a52, v25
	;; [unrolled: 1-line block ×8, first 2 shown]
	v_fmamk_f16 v13, v13, 0xbcab, v0
	v_fmamk_f16 v14, v14, 0xbcab, v32
	;; [unrolled: 1-line block ×4, first 2 shown]
	v_fma_f16 v33, v36, 0x39e0, -v33
	v_fma_f16 v34, v37, 0x39e0, -v34
	;; [unrolled: 1-line block ×4, first 2 shown]
	v_fmamk_f16 v36, v12, 0xb574, v38
	v_fmamk_f16 v37, v6, 0xb574, v39
	v_fma_f16 v12, v12, 0x3574, -v44
	v_fma_f16 v6, v6, 0x3574, -v45
	v_fma_f16 v31, v31, 0xbb00, -v38
	v_fma_f16 v4, v4, 0xbb00, -v39
	v_add_f16_e32 v19, v19, v13
	v_add_f16_e32 v26, v26, v14
	;; [unrolled: 1-line block ×6, first 2 shown]
	v_fmac_f16_e32 v36, 0xb70e, v15
	v_fmac_f16_e32 v37, 0xb70e, v2
	;; [unrolled: 1-line block ×6, first 2 shown]
	v_add_f16_e32 v2, v37, v19
	v_sub_f16_e32 v15, v26, v36
	v_add_f16_e32 v22, v6, v13
	v_sub_f16_e32 v25, v14, v12
	v_sub_f16_e32 v6, v13, v6
	v_add_f16_e32 v12, v12, v14
	v_sub_f16_e32 v13, v19, v37
	v_add_f16_e32 v14, v36, v26
	v_add_f16_e32 v19, v21, v23
	;; [unrolled: 1-line block ×3, first 2 shown]
	v_sub_f16_e32 v21, v21, v23
	v_sub_f16_e32 v3, v3, v20
	v_add_f16_e32 v20, v8, v10
	v_add_f16_e32 v23, v5, v11
	v_sub_f16_e32 v38, v33, v4
	v_add_f16_e32 v4, v4, v33
	v_sub_f16_e32 v8, v8, v10
	v_sub_f16_e32 v5, v5, v11
	v_add_f16_e32 v10, v24, v35
	v_add_f16_e32 v11, v7, v9
	v_sub_f16_e32 v24, v35, v24
	v_sub_f16_e32 v7, v9, v7
	v_add_f16_e32 v9, v20, v19
	v_add_f16_e32 v33, v23, v26
	v_lshrrev_b32_e32 v40, 16, v1
	v_add_f16_e32 v39, v31, v34
	v_sub_f16_e32 v31, v34, v31
	v_sub_f16_e32 v34, v20, v19
	;; [unrolled: 1-line block ×7, first 2 shown]
	v_add_f16_e32 v36, v24, v8
	v_add_f16_e32 v37, v7, v5
	v_sub_f16_e32 v44, v24, v8
	v_sub_f16_e32 v45, v7, v5
	v_add_f16_e32 v9, v10, v9
	v_add_f16_e32 v10, v11, v33
	v_sub_f16_e32 v8, v8, v21
	v_sub_f16_e32 v5, v5, v3
	;; [unrolled: 1-line block ×4, first 2 shown]
	v_add_f16_e32 v11, v36, v21
	v_add_f16_e32 v3, v37, v3
	;; [unrolled: 1-line block ×4, first 2 shown]
	v_mul_f16_e32 v19, 0x3a52, v19
	v_mul_f16_e32 v26, 0x3a52, v26
	;; [unrolled: 1-line block ×8, first 2 shown]
	v_fmamk_f16 v9, v9, 0xbcab, v1
	v_fmamk_f16 v10, v10, 0xbcab, v21
	;; [unrolled: 1-line block ×4, first 2 shown]
	v_fma_f16 v33, v34, 0x39e0, -v33
	v_fma_f16 v36, v35, 0x39e0, -v36
	;; [unrolled: 1-line block ×4, first 2 shown]
	v_fmamk_f16 v34, v24, 0xb574, v37
	v_fmamk_f16 v35, v7, 0xb574, v40
	v_fma_f16 v24, v24, 0x3574, -v44
	v_fma_f16 v7, v7, 0x3574, -v45
	;; [unrolled: 1-line block ×4, first 2 shown]
	v_add_f16_e32 v20, v20, v9
	v_add_f16_e32 v23, v23, v10
	v_fmac_f16_e32 v34, 0xb70e, v11
	v_fmac_f16_e32 v35, 0xb70e, v3
	v_add_f16_e32 v33, v33, v9
	v_add_f16_e32 v36, v36, v10
	v_add_f16_e32 v9, v19, v9
	v_add_f16_e32 v10, v26, v10
	v_fmac_f16_e32 v7, 0xb70e, v3
	v_fmac_f16_e32 v24, 0xb70e, v11
	;; [unrolled: 1-line block ×4, first 2 shown]
	v_add_f16_e32 v3, v35, v20
	v_sub_f16_e32 v11, v23, v34
	v_add_f16_e32 v19, v7, v9
	v_sub_f16_e32 v26, v10, v24
	v_pack_b32_f16 v0, v0, v32
	v_pack_b32_f16 v1, v1, v21
	v_sub_f16_e32 v37, v33, v5
	v_add_f16_e32 v40, v8, v36
	v_pack_b32_f16 v2, v2, v15
	v_pack_b32_f16 v3, v3, v11
	v_add_f16_e32 v5, v5, v33
	v_sub_f16_e32 v8, v36, v8
	v_sub_f16_e32 v7, v9, v7
	v_add_f16_e32 v9, v24, v10
	v_sub_f16_e32 v10, v20, v35
	v_add_f16_e32 v20, v34, v23
	v_pack_b32_f16 v15, v22, v25
	ds_store_2addr_b32 v48, v0, v1 offset1:119
	ds_store_2addr_b32 v28, v2, v3 offset0:110 offset1:229
	v_pack_b32_f16 v0, v19, v26
	v_pack_b32_f16 v22, v38, v39
	;; [unrolled: 1-line block ×9, first 2 shown]
	ds_store_2addr_b32 v29, v15, v0 offset0:92 offset1:211
	ds_store_2addr_b32 v17, v22, v1 offset0:74 offset1:193
	;; [unrolled: 1-line block ×5, first 2 shown]
	global_wb scope:SCOPE_SE
	s_wait_dscnt 0x0
	s_barrier_signal -1
	s_barrier_wait -1
	global_inv scope:SCOPE_SE
	s_and_b32 exec_lo, exec_lo, vcc_lo
	s_cbranch_execz .LBB0_15
; %bb.14:
	global_load_b32 v0, v41, s[12:13]
	ds_load_b32 v1, v48
	s_mov_b32 s8, 0xca869b81
	s_mov_b32 s9, 0x3f43ab2d
	v_mad_co_u64_u32 v[6:7], null, s4, v42, 0
	s_wait_dscnt 0x0
	v_lshrrev_b32_e32 v2, 16, v1
	s_wait_loadcnt 0x0
	v_lshrrev_b32_e32 v3, 16, v0
	s_delay_alu instid0(VALU_DEP_1) | instskip(SKIP_1) | instid1(VALU_DEP_2)
	v_mul_f16_e32 v4, v2, v3
	v_mul_f16_e32 v3, v1, v3
	v_fmac_f16_e32 v4, v1, v0
	s_delay_alu instid0(VALU_DEP_2) | instskip(NEXT) | instid1(VALU_DEP_2)
	v_fma_f16 v0, v0, v2, -v3
	v_cvt_f32_f16_e32 v1, v4
	s_delay_alu instid0(VALU_DEP_2) | instskip(SKIP_1) | instid1(VALU_DEP_3)
	v_cvt_f32_f16_e32 v2, v0
	v_mad_co_u64_u32 v[4:5], null, s6, v16, 0
	v_cvt_f64_f32_e32 v[0:1], v1
	s_delay_alu instid0(VALU_DEP_3) | instskip(SKIP_1) | instid1(VALU_DEP_2)
	v_cvt_f64_f32_e32 v[2:3], v2
	s_wait_alu 0xfffe
	v_mul_f64_e32 v[0:1], s[8:9], v[0:1]
	s_delay_alu instid0(VALU_DEP_2) | instskip(NEXT) | instid1(VALU_DEP_2)
	v_mul_f64_e32 v[2:3], s[8:9], v[2:3]
	v_and_or_b32 v0, 0x1ff, v1, v0
	s_delay_alu instid0(VALU_DEP_2)
	v_and_or_b32 v2, 0x1ff, v3, v2
	v_lshrrev_b32_e32 v8, 8, v1
	v_bfe_u32 v10, v1, 20, 11
	v_lshrrev_b32_e32 v9, 8, v3
	v_cmp_ne_u32_e32 vcc_lo, 0, v0
	v_bfe_u32 v11, v3, 20, 11
	v_mov_b32_e32 v0, v7
	v_sub_nc_u32_e32 v13, 0x3f1, v10
	v_lshrrev_b32_e32 v3, 16, v3
	v_cndmask_b32_e64 v12, 0, 1, vcc_lo
	v_cmp_ne_u32_e32 vcc_lo, 0, v2
	v_sub_nc_u32_e32 v14, 0x3f1, v11
	v_med3_i32 v13, v13, 0, 13
	s_delay_alu instid0(VALU_DEP_4)
	v_and_or_b32 v12, 0xffe, v8, v12
	s_wait_alu 0xfffd
	v_cndmask_b32_e64 v2, 0, 1, vcc_lo
	v_mad_co_u64_u32 v[7:8], null, s7, v16, v[5:6]
	v_med3_i32 v14, v14, 0, 13
	v_or_b32_e32 v15, 0x1000, v12
	s_delay_alu instid0(VALU_DEP_4) | instskip(NEXT) | instid1(VALU_DEP_4)
	v_and_or_b32 v2, 0xffe, v9, v2
	v_mov_b32_e32 v5, v7
	s_delay_alu instid0(VALU_DEP_2) | instskip(SKIP_2) | instid1(VALU_DEP_4)
	v_or_b32_e32 v16, 0x1000, v2
	v_mad_co_u64_u32 v[8:9], null, s5, v42, v[0:1]
	v_lshrrev_b32_e32 v0, v13, v15
	v_lshlrev_b64_e32 v[4:5], 2, v[4:5]
	s_delay_alu instid0(VALU_DEP_4) | instskip(SKIP_1) | instid1(VALU_DEP_3)
	v_lshrrev_b32_e32 v9, v14, v16
	s_mul_u64 s[4:5], s[4:5], 0x188
	v_lshlrev_b32_e32 v13, v13, v0
	s_delay_alu instid0(VALU_DEP_2) | instskip(NEXT) | instid1(VALU_DEP_2)
	v_dual_mov_b32 v7, v8 :: v_dual_lshlrev_b32 v8, v14, v9
	v_cmp_ne_u32_e32 vcc_lo, v13, v15
	s_wait_alu 0xfffd
	v_cndmask_b32_e64 v13, 0, 1, vcc_lo
	s_delay_alu instid0(VALU_DEP_3) | instskip(NEXT) | instid1(VALU_DEP_2)
	v_cmp_ne_u32_e32 vcc_lo, v8, v16
	v_or_b32_e32 v0, v0, v13
	v_add_nc_u32_e32 v11, 0xfffffc10, v11
	s_wait_alu 0xfffd
	v_cndmask_b32_e64 v8, 0, 1, vcc_lo
	s_delay_alu instid0(VALU_DEP_2) | instskip(NEXT) | instid1(VALU_DEP_2)
	v_lshl_or_b32 v13, v11, 12, v2
	v_or_b32_e32 v8, v9, v8
	v_add_nc_u32_e32 v10, 0xfffffc10, v10
	v_lshrrev_b32_e32 v9, 16, v1
	s_delay_alu instid0(VALU_DEP_2) | instskip(SKIP_2) | instid1(VALU_DEP_2)
	v_lshl_or_b32 v14, v10, 12, v12
	v_cmp_gt_i32_e32 vcc_lo, 1, v10
	s_wait_alu 0xfffd
	v_cndmask_b32_e32 v0, v14, v0, vcc_lo
	v_cmp_gt_i32_e32 vcc_lo, 1, v11
	s_wait_alu 0xfffd
	v_cndmask_b32_e32 v1, v13, v8, vcc_lo
	v_cmp_ne_u32_e32 vcc_lo, 0, v12
	v_and_b32_e32 v12, 7, v0
	v_lshrrev_b32_e32 v0, 2, v0
	s_wait_alu 0xfffd
	v_cndmask_b32_e64 v8, 0, 1, vcc_lo
	v_cmp_ne_u32_e32 vcc_lo, 0, v2
	v_cmp_eq_u32_e64 s0, 3, v12
	s_delay_alu instid0(VALU_DEP_3) | instskip(SKIP_3) | instid1(VALU_DEP_2)
	v_lshl_or_b32 v8, v8, 9, 0x7c00
	s_wait_alu 0xfffd
	v_cndmask_b32_e64 v2, 0, 1, vcc_lo
	v_cmp_lt_i32_e32 vcc_lo, 5, v12
	v_lshl_or_b32 v2, v2, 9, 0x7c00
	s_or_b32 vcc_lo, s0, vcc_lo
	s_wait_alu 0xfffe
	v_add_co_ci_u32_e32 v0, vcc_lo, 0, v0, vcc_lo
	v_and_b32_e32 v13, 7, v1
	v_lshrrev_b32_e32 v1, 2, v1
	s_delay_alu instid0(VALU_DEP_2) | instskip(SKIP_1) | instid1(VALU_DEP_1)
	v_cmp_lt_i32_e64 s1, 5, v13
	v_cmp_eq_u32_e64 s2, 3, v13
	s_or_b32 vcc_lo, s2, s1
	s_wait_alu 0xfffe
	v_add_co_ci_u32_e32 v1, vcc_lo, 0, v1, vcc_lo
	v_cmp_gt_i32_e32 vcc_lo, 31, v10
	s_wait_alu 0xfffd
	v_cndmask_b32_e32 v0, 0x7c00, v0, vcc_lo
	v_cmp_gt_i32_e32 vcc_lo, 31, v11
	s_wait_alu 0xfffd
	v_cndmask_b32_e32 v12, 0x7c00, v1, vcc_lo
	v_cmp_eq_u32_e32 vcc_lo, 0x40f, v10
	s_wait_alu 0xfffd
	v_cndmask_b32_e32 v8, v0, v8, vcc_lo
	v_cmp_eq_u32_e32 vcc_lo, 0x40f, v11
	v_lshlrev_b64_e32 v[0:1], 2, v[6:7]
	s_delay_alu instid0(VALU_DEP_3)
	v_and_or_b32 v6, 0x8000, v9, v8
	s_wait_alu 0xfffd
	v_cndmask_b32_e32 v2, v12, v2, vcc_lo
	v_add_co_u32 v4, vcc_lo, s14, v4
	s_wait_alu 0xfffd
	v_add_co_ci_u32_e32 v5, vcc_lo, s15, v5, vcc_lo
	s_delay_alu instid0(VALU_DEP_3) | instskip(SKIP_4) | instid1(VALU_DEP_3)
	v_and_or_b32 v2, 0x8000, v3, v2
	v_and_b32_e32 v3, 0xffff, v6
	v_add_co_u32 v0, vcc_lo, v4, v0
	s_wait_alu 0xfffd
	v_add_co_ci_u32_e32 v1, vcc_lo, v5, v1, vcc_lo
	v_lshl_or_b32 v2, v2, 16, v3
	global_store_b32 v[0:1], v2, off
	global_load_b32 v4, v41, s[12:13] offset:392
	ds_load_2addr_b32 v[2:3], v43 offset0:98 offset1:196
	s_wait_dscnt 0x0
	v_lshrrev_b32_e32 v5, 16, v2
	s_wait_loadcnt 0x0
	v_lshrrev_b32_e32 v6, 16, v4
	s_delay_alu instid0(VALU_DEP_1) | instskip(SKIP_1) | instid1(VALU_DEP_2)
	v_mul_f16_e32 v7, v5, v6
	v_mul_f16_e32 v6, v2, v6
	v_fmac_f16_e32 v7, v2, v4
	s_delay_alu instid0(VALU_DEP_2) | instskip(NEXT) | instid1(VALU_DEP_2)
	v_fma_f16 v2, v4, v5, -v6
	v_cvt_f32_f16_e32 v4, v7
	s_delay_alu instid0(VALU_DEP_2) | instskip(NEXT) | instid1(VALU_DEP_2)
	v_cvt_f32_f16_e32 v2, v2
	v_cvt_f64_f32_e32 v[4:5], v4
	s_delay_alu instid0(VALU_DEP_2) | instskip(NEXT) | instid1(VALU_DEP_2)
	v_cvt_f64_f32_e32 v[6:7], v2
	v_mul_f64_e32 v[4:5], s[8:9], v[4:5]
	s_delay_alu instid0(VALU_DEP_2) | instskip(NEXT) | instid1(VALU_DEP_2)
	v_mul_f64_e32 v[6:7], s[8:9], v[6:7]
	v_and_or_b32 v2, 0x1ff, v5, v4
	s_delay_alu instid0(VALU_DEP_2)
	v_and_or_b32 v6, 0x1ff, v7, v6
	v_lshrrev_b32_e32 v4, 8, v5
	v_bfe_u32 v8, v5, 20, 11
	v_lshrrev_b32_e32 v9, 8, v7
	v_cmp_ne_u32_e32 vcc_lo, 0, v2
	v_bfe_u32 v10, v7, 20, 11
	v_lshrrev_b32_e32 v5, 16, v5
	v_sub_nc_u32_e32 v11, 0x3f1, v8
	v_add_nc_u32_e32 v8, 0xfffffc10, v8
	s_wait_alu 0xfffd
	v_cndmask_b32_e64 v2, 0, 1, vcc_lo
	v_cmp_ne_u32_e32 vcc_lo, 0, v6
	v_lshrrev_b32_e32 v7, 16, v7
	s_delay_alu instid0(VALU_DEP_3) | instskip(SKIP_4) | instid1(VALU_DEP_3)
	v_and_or_b32 v2, 0xffe, v4, v2
	s_wait_alu 0xfffd
	v_cndmask_b32_e64 v6, 0, 1, vcc_lo
	v_sub_nc_u32_e32 v4, 0x3f1, v10
	v_add_nc_u32_e32 v10, 0xfffffc10, v10
	v_and_or_b32 v6, 0xffe, v9, v6
	v_med3_i32 v9, v11, 0, 13
	v_or_b32_e32 v11, 0x1000, v2
	v_med3_i32 v4, v4, 0, 13
	s_delay_alu instid0(VALU_DEP_4) | instskip(NEXT) | instid1(VALU_DEP_3)
	v_or_b32_e32 v12, 0x1000, v6
	v_lshrrev_b32_e32 v13, v9, v11
	s_delay_alu instid0(VALU_DEP_2) | instskip(NEXT) | instid1(VALU_DEP_2)
	v_lshrrev_b32_e32 v14, v4, v12
	v_lshlrev_b32_e32 v9, v9, v13
	s_delay_alu instid0(VALU_DEP_2) | instskip(NEXT) | instid1(VALU_DEP_2)
	v_lshlrev_b32_e32 v4, v4, v14
	v_cmp_ne_u32_e32 vcc_lo, v9, v11
	v_lshl_or_b32 v11, v8, 12, v2
	s_wait_alu 0xfffd
	v_cndmask_b32_e64 v9, 0, 1, vcc_lo
	v_cmp_ne_u32_e32 vcc_lo, v4, v12
	v_lshl_or_b32 v12, v10, 12, v6
	s_delay_alu instid0(VALU_DEP_3) | instskip(SKIP_3) | instid1(VALU_DEP_2)
	v_or_b32_e32 v9, v13, v9
	s_wait_alu 0xfffd
	v_cndmask_b32_e64 v4, 0, 1, vcc_lo
	v_cmp_gt_i32_e32 vcc_lo, 1, v8
	v_or_b32_e32 v4, v14, v4
	s_wait_alu 0xfffd
	v_cndmask_b32_e32 v9, v11, v9, vcc_lo
	v_cmp_gt_i32_e32 vcc_lo, 1, v10
	s_wait_alu 0xfffd
	s_delay_alu instid0(VALU_DEP_2) | instskip(SKIP_2) | instid1(VALU_DEP_3)
	v_dual_cndmask_b32 v4, v12, v4 :: v_dual_and_b32 v11, 7, v9
	v_cmp_ne_u32_e32 vcc_lo, 0, v2
	v_lshrrev_b32_e32 v9, 2, v9
	v_cmp_eq_u32_e64 s0, 3, v11
	s_delay_alu instid0(VALU_DEP_4)
	v_and_b32_e32 v12, 7, v4
	s_wait_alu 0xfffd
	v_cndmask_b32_e64 v2, 0, 1, vcc_lo
	v_cmp_ne_u32_e32 vcc_lo, 0, v6
	v_lshrrev_b32_e32 v4, 2, v4
	v_cmp_lt_i32_e64 s1, 5, v12
	v_cmp_eq_u32_e64 s2, 3, v12
	s_wait_alu 0xfffd
	v_cndmask_b32_e64 v6, 0, 1, vcc_lo
	v_cmp_lt_i32_e32 vcc_lo, 5, v11
	v_lshl_or_b32 v2, v2, 9, 0x7c00
	s_delay_alu instid0(VALU_DEP_3)
	v_lshl_or_b32 v6, v6, 9, 0x7c00
	s_or_b32 vcc_lo, s0, vcc_lo
	s_wait_alu 0xfffe
	v_add_co_ci_u32_e32 v9, vcc_lo, 0, v9, vcc_lo
	s_or_b32 vcc_lo, s2, s1
	s_wait_alu 0xfffe
	v_add_co_ci_u32_e32 v4, vcc_lo, 0, v4, vcc_lo
	v_cmp_gt_i32_e32 vcc_lo, 31, v8
	s_wait_alu 0xfffd
	v_cndmask_b32_e32 v9, 0x7c00, v9, vcc_lo
	v_cmp_gt_i32_e32 vcc_lo, 31, v10
	s_wait_alu 0xfffd
	v_cndmask_b32_e32 v4, 0x7c00, v4, vcc_lo
	v_cmp_eq_u32_e32 vcc_lo, 0x40f, v8
	s_wait_alu 0xfffd
	v_cndmask_b32_e32 v2, v9, v2, vcc_lo
	v_cmp_eq_u32_e32 vcc_lo, 0x40f, v10
	s_delay_alu instid0(VALU_DEP_2)
	v_and_or_b32 v2, 0x8000, v5, v2
	s_wait_alu 0xfffd
	v_cndmask_b32_e32 v4, v4, v6, vcc_lo
	v_add_co_u32 v0, vcc_lo, v0, s4
	s_wait_alu 0xfffd
	v_add_co_ci_u32_e32 v1, vcc_lo, s5, v1, vcc_lo
	s_delay_alu instid0(VALU_DEP_3) | instskip(SKIP_1) | instid1(VALU_DEP_1)
	v_and_or_b32 v4, 0x8000, v7, v4
	v_and_b32_e32 v2, 0xffff, v2
	v_lshl_or_b32 v2, v4, 16, v2
	v_lshrrev_b32_e32 v4, 16, v3
	global_store_b32 v[0:1], v2, off
	global_load_b32 v2, v41, s[12:13] offset:784
	s_wait_loadcnt 0x0
	v_lshrrev_b32_e32 v5, 16, v2
	s_delay_alu instid0(VALU_DEP_1) | instskip(SKIP_1) | instid1(VALU_DEP_2)
	v_mul_f16_e32 v6, v4, v5
	v_mul_f16_e32 v5, v3, v5
	v_fmac_f16_e32 v6, v3, v2
	s_delay_alu instid0(VALU_DEP_2) | instskip(NEXT) | instid1(VALU_DEP_2)
	v_fma_f16 v2, v2, v4, -v5
	v_cvt_f32_f16_e32 v3, v6
	s_delay_alu instid0(VALU_DEP_2) | instskip(NEXT) | instid1(VALU_DEP_2)
	v_cvt_f32_f16_e32 v4, v2
	v_cvt_f64_f32_e32 v[2:3], v3
	s_delay_alu instid0(VALU_DEP_2) | instskip(NEXT) | instid1(VALU_DEP_2)
	v_cvt_f64_f32_e32 v[4:5], v4
	v_mul_f64_e32 v[2:3], s[8:9], v[2:3]
	s_delay_alu instid0(VALU_DEP_2) | instskip(NEXT) | instid1(VALU_DEP_2)
	v_mul_f64_e32 v[4:5], s[8:9], v[4:5]
	v_and_or_b32 v2, 0x1ff, v3, v2
	s_delay_alu instid0(VALU_DEP_2)
	v_and_or_b32 v4, 0x1ff, v5, v4
	v_lshrrev_b32_e32 v6, 8, v3
	v_bfe_u32 v7, v3, 20, 11
	v_lshrrev_b32_e32 v8, 8, v5
	v_cmp_ne_u32_e32 vcc_lo, 0, v2
	v_bfe_u32 v9, v5, 20, 11
	v_lshrrev_b32_e32 v3, 16, v3
	v_sub_nc_u32_e32 v10, 0x3f1, v7
	v_add_nc_u32_e32 v7, 0xfffffc10, v7
	s_wait_alu 0xfffd
	v_cndmask_b32_e64 v2, 0, 1, vcc_lo
	v_cmp_ne_u32_e32 vcc_lo, 0, v4
	v_lshrrev_b32_e32 v5, 16, v5
	s_delay_alu instid0(VALU_DEP_3) | instskip(SKIP_4) | instid1(VALU_DEP_3)
	v_and_or_b32 v2, 0xffe, v6, v2
	s_wait_alu 0xfffd
	v_cndmask_b32_e64 v4, 0, 1, vcc_lo
	v_sub_nc_u32_e32 v6, 0x3f1, v9
	v_add_nc_u32_e32 v9, 0xfffffc10, v9
	v_and_or_b32 v4, 0xffe, v8, v4
	v_med3_i32 v8, v10, 0, 13
	v_or_b32_e32 v10, 0x1000, v2
	v_med3_i32 v6, v6, 0, 13
	s_delay_alu instid0(VALU_DEP_4) | instskip(NEXT) | instid1(VALU_DEP_3)
	v_or_b32_e32 v11, 0x1000, v4
	v_lshrrev_b32_e32 v12, v8, v10
	s_delay_alu instid0(VALU_DEP_2) | instskip(NEXT) | instid1(VALU_DEP_2)
	v_lshrrev_b32_e32 v13, v6, v11
	v_lshlrev_b32_e32 v8, v8, v12
	s_delay_alu instid0(VALU_DEP_2) | instskip(NEXT) | instid1(VALU_DEP_2)
	v_lshlrev_b32_e32 v6, v6, v13
	v_cmp_ne_u32_e32 vcc_lo, v8, v10
	v_lshl_or_b32 v10, v7, 12, v2
	s_wait_alu 0xfffd
	v_cndmask_b32_e64 v8, 0, 1, vcc_lo
	v_cmp_ne_u32_e32 vcc_lo, v6, v11
	v_lshl_or_b32 v11, v9, 12, v4
	s_delay_alu instid0(VALU_DEP_3) | instskip(SKIP_3) | instid1(VALU_DEP_2)
	v_or_b32_e32 v8, v12, v8
	s_wait_alu 0xfffd
	v_cndmask_b32_e64 v6, 0, 1, vcc_lo
	v_cmp_gt_i32_e32 vcc_lo, 1, v7
	v_or_b32_e32 v6, v13, v6
	s_wait_alu 0xfffd
	v_cndmask_b32_e32 v8, v10, v8, vcc_lo
	v_cmp_gt_i32_e32 vcc_lo, 1, v9
	s_delay_alu instid0(VALU_DEP_2)
	v_and_b32_e32 v10, 7, v8
	s_wait_alu 0xfffd
	v_cndmask_b32_e32 v6, v11, v6, vcc_lo
	v_cmp_ne_u32_e32 vcc_lo, 0, v2
	v_lshrrev_b32_e32 v8, 2, v8
	v_cmp_eq_u32_e64 s0, 3, v10
	s_delay_alu instid0(VALU_DEP_4)
	v_and_b32_e32 v11, 7, v6
	s_wait_alu 0xfffd
	v_cndmask_b32_e64 v2, 0, 1, vcc_lo
	v_cmp_ne_u32_e32 vcc_lo, 0, v4
	v_lshrrev_b32_e32 v6, 2, v6
	v_cmp_lt_i32_e64 s1, 5, v11
	v_cmp_eq_u32_e64 s2, 3, v11
	s_wait_alu 0xfffd
	v_cndmask_b32_e64 v4, 0, 1, vcc_lo
	v_cmp_lt_i32_e32 vcc_lo, 5, v10
	v_lshl_or_b32 v2, v2, 9, 0x7c00
	s_delay_alu instid0(VALU_DEP_3)
	v_lshl_or_b32 v4, v4, 9, 0x7c00
	s_or_b32 vcc_lo, s0, vcc_lo
	s_wait_alu 0xfffe
	v_add_co_ci_u32_e32 v8, vcc_lo, 0, v8, vcc_lo
	s_or_b32 vcc_lo, s2, s1
	s_wait_alu 0xfffe
	v_add_co_ci_u32_e32 v6, vcc_lo, 0, v6, vcc_lo
	v_cmp_gt_i32_e32 vcc_lo, 31, v7
	s_wait_alu 0xfffd
	v_cndmask_b32_e32 v8, 0x7c00, v8, vcc_lo
	v_cmp_gt_i32_e32 vcc_lo, 31, v9
	s_wait_alu 0xfffd
	v_cndmask_b32_e32 v6, 0x7c00, v6, vcc_lo
	v_cmp_eq_u32_e32 vcc_lo, 0x40f, v7
	s_wait_alu 0xfffd
	v_cndmask_b32_e32 v2, v8, v2, vcc_lo
	v_cmp_eq_u32_e32 vcc_lo, 0x40f, v9
	s_delay_alu instid0(VALU_DEP_2)
	v_and_or_b32 v2, 0x8000, v3, v2
	s_wait_alu 0xfffd
	v_cndmask_b32_e32 v4, v6, v4, vcc_lo
	v_add_co_u32 v0, vcc_lo, v0, s4
	s_wait_alu 0xfffd
	v_add_co_ci_u32_e32 v1, vcc_lo, s5, v1, vcc_lo
	s_delay_alu instid0(VALU_DEP_3) | instskip(SKIP_1) | instid1(VALU_DEP_1)
	v_and_or_b32 v3, 0x8000, v5, v4
	v_and_b32_e32 v2, 0xffff, v2
	v_lshl_or_b32 v2, v3, 16, v2
	global_store_b32 v[0:1], v2, off
	global_load_b32 v4, v41, s[12:13] offset:1176
	v_add_nc_u32_e32 v2, 0x400, v43
	ds_load_2addr_b32 v[2:3], v2 offset0:38 offset1:136
	s_wait_dscnt 0x0
	v_lshrrev_b32_e32 v5, 16, v2
	s_wait_loadcnt 0x0
	v_lshrrev_b32_e32 v6, 16, v4
	s_delay_alu instid0(VALU_DEP_1) | instskip(SKIP_1) | instid1(VALU_DEP_2)
	v_mul_f16_e32 v7, v5, v6
	v_mul_f16_e32 v6, v2, v6
	v_fmac_f16_e32 v7, v2, v4
	s_delay_alu instid0(VALU_DEP_2) | instskip(NEXT) | instid1(VALU_DEP_2)
	v_fma_f16 v2, v4, v5, -v6
	v_cvt_f32_f16_e32 v4, v7
	s_delay_alu instid0(VALU_DEP_2) | instskip(NEXT) | instid1(VALU_DEP_2)
	v_cvt_f32_f16_e32 v2, v2
	v_cvt_f64_f32_e32 v[4:5], v4
	s_delay_alu instid0(VALU_DEP_2) | instskip(NEXT) | instid1(VALU_DEP_2)
	v_cvt_f64_f32_e32 v[6:7], v2
	v_mul_f64_e32 v[4:5], s[8:9], v[4:5]
	s_delay_alu instid0(VALU_DEP_2) | instskip(NEXT) | instid1(VALU_DEP_2)
	v_mul_f64_e32 v[6:7], s[8:9], v[6:7]
	v_and_or_b32 v2, 0x1ff, v5, v4
	s_delay_alu instid0(VALU_DEP_2)
	v_and_or_b32 v6, 0x1ff, v7, v6
	v_lshrrev_b32_e32 v4, 8, v5
	v_bfe_u32 v8, v5, 20, 11
	v_lshrrev_b32_e32 v9, 8, v7
	v_cmp_ne_u32_e32 vcc_lo, 0, v2
	v_bfe_u32 v10, v7, 20, 11
	v_lshrrev_b32_e32 v5, 16, v5
	v_sub_nc_u32_e32 v11, 0x3f1, v8
	v_add_nc_u32_e32 v8, 0xfffffc10, v8
	s_wait_alu 0xfffd
	v_cndmask_b32_e64 v2, 0, 1, vcc_lo
	v_cmp_ne_u32_e32 vcc_lo, 0, v6
	v_lshrrev_b32_e32 v7, 16, v7
	s_delay_alu instid0(VALU_DEP_3) | instskip(SKIP_4) | instid1(VALU_DEP_3)
	v_and_or_b32 v2, 0xffe, v4, v2
	s_wait_alu 0xfffd
	v_cndmask_b32_e64 v6, 0, 1, vcc_lo
	v_sub_nc_u32_e32 v4, 0x3f1, v10
	v_add_nc_u32_e32 v10, 0xfffffc10, v10
	v_and_or_b32 v6, 0xffe, v9, v6
	v_med3_i32 v9, v11, 0, 13
	v_or_b32_e32 v11, 0x1000, v2
	v_med3_i32 v4, v4, 0, 13
	s_delay_alu instid0(VALU_DEP_4) | instskip(NEXT) | instid1(VALU_DEP_3)
	v_or_b32_e32 v12, 0x1000, v6
	v_lshrrev_b32_e32 v13, v9, v11
	s_delay_alu instid0(VALU_DEP_2) | instskip(NEXT) | instid1(VALU_DEP_2)
	v_lshrrev_b32_e32 v14, v4, v12
	v_lshlrev_b32_e32 v9, v9, v13
	s_delay_alu instid0(VALU_DEP_2) | instskip(NEXT) | instid1(VALU_DEP_2)
	v_lshlrev_b32_e32 v4, v4, v14
	v_cmp_ne_u32_e32 vcc_lo, v9, v11
	v_lshl_or_b32 v11, v8, 12, v2
	s_wait_alu 0xfffd
	v_cndmask_b32_e64 v9, 0, 1, vcc_lo
	v_cmp_ne_u32_e32 vcc_lo, v4, v12
	v_lshl_or_b32 v12, v10, 12, v6
	s_delay_alu instid0(VALU_DEP_3) | instskip(SKIP_3) | instid1(VALU_DEP_2)
	v_or_b32_e32 v9, v13, v9
	s_wait_alu 0xfffd
	v_cndmask_b32_e64 v4, 0, 1, vcc_lo
	v_cmp_gt_i32_e32 vcc_lo, 1, v8
	v_or_b32_e32 v4, v14, v4
	s_wait_alu 0xfffd
	v_cndmask_b32_e32 v9, v11, v9, vcc_lo
	v_cmp_gt_i32_e32 vcc_lo, 1, v10
	s_wait_alu 0xfffd
	s_delay_alu instid0(VALU_DEP_2) | instskip(SKIP_2) | instid1(VALU_DEP_3)
	v_dual_cndmask_b32 v4, v12, v4 :: v_dual_and_b32 v11, 7, v9
	v_cmp_ne_u32_e32 vcc_lo, 0, v2
	v_lshrrev_b32_e32 v9, 2, v9
	v_cmp_eq_u32_e64 s0, 3, v11
	s_delay_alu instid0(VALU_DEP_4)
	v_and_b32_e32 v12, 7, v4
	s_wait_alu 0xfffd
	v_cndmask_b32_e64 v2, 0, 1, vcc_lo
	v_cmp_ne_u32_e32 vcc_lo, 0, v6
	v_lshrrev_b32_e32 v4, 2, v4
	v_cmp_lt_i32_e64 s1, 5, v12
	v_cmp_eq_u32_e64 s2, 3, v12
	s_wait_alu 0xfffd
	v_cndmask_b32_e64 v6, 0, 1, vcc_lo
	v_cmp_lt_i32_e32 vcc_lo, 5, v11
	v_lshl_or_b32 v2, v2, 9, 0x7c00
	s_delay_alu instid0(VALU_DEP_3)
	v_lshl_or_b32 v6, v6, 9, 0x7c00
	s_or_b32 vcc_lo, s0, vcc_lo
	s_wait_alu 0xfffe
	v_add_co_ci_u32_e32 v9, vcc_lo, 0, v9, vcc_lo
	s_or_b32 vcc_lo, s2, s1
	s_wait_alu 0xfffe
	v_add_co_ci_u32_e32 v4, vcc_lo, 0, v4, vcc_lo
	v_cmp_gt_i32_e32 vcc_lo, 31, v8
	s_wait_alu 0xfffd
	v_cndmask_b32_e32 v9, 0x7c00, v9, vcc_lo
	v_cmp_gt_i32_e32 vcc_lo, 31, v10
	s_wait_alu 0xfffd
	v_cndmask_b32_e32 v4, 0x7c00, v4, vcc_lo
	v_cmp_eq_u32_e32 vcc_lo, 0x40f, v8
	s_wait_alu 0xfffd
	v_cndmask_b32_e32 v2, v9, v2, vcc_lo
	v_cmp_eq_u32_e32 vcc_lo, 0x40f, v10
	s_delay_alu instid0(VALU_DEP_2)
	v_and_or_b32 v2, 0x8000, v5, v2
	s_wait_alu 0xfffd
	v_cndmask_b32_e32 v4, v4, v6, vcc_lo
	v_add_co_u32 v0, vcc_lo, v0, s4
	s_wait_alu 0xfffd
	v_add_co_ci_u32_e32 v1, vcc_lo, s5, v1, vcc_lo
	s_delay_alu instid0(VALU_DEP_3) | instskip(SKIP_1) | instid1(VALU_DEP_1)
	v_and_or_b32 v4, 0x8000, v7, v4
	v_and_b32_e32 v2, 0xffff, v2
	v_lshl_or_b32 v2, v4, 16, v2
	v_lshrrev_b32_e32 v4, 16, v3
	global_store_b32 v[0:1], v2, off
	global_load_b32 v2, v41, s[12:13] offset:1568
	s_wait_loadcnt 0x0
	v_lshrrev_b32_e32 v5, 16, v2
	s_delay_alu instid0(VALU_DEP_1) | instskip(SKIP_1) | instid1(VALU_DEP_2)
	v_mul_f16_e32 v6, v4, v5
	v_mul_f16_e32 v5, v3, v5
	v_fmac_f16_e32 v6, v3, v2
	s_delay_alu instid0(VALU_DEP_2) | instskip(NEXT) | instid1(VALU_DEP_2)
	v_fma_f16 v2, v2, v4, -v5
	v_cvt_f32_f16_e32 v3, v6
	s_delay_alu instid0(VALU_DEP_2) | instskip(NEXT) | instid1(VALU_DEP_2)
	v_cvt_f32_f16_e32 v4, v2
	v_cvt_f64_f32_e32 v[2:3], v3
	s_delay_alu instid0(VALU_DEP_2) | instskip(NEXT) | instid1(VALU_DEP_2)
	v_cvt_f64_f32_e32 v[4:5], v4
	v_mul_f64_e32 v[2:3], s[8:9], v[2:3]
	s_delay_alu instid0(VALU_DEP_2) | instskip(NEXT) | instid1(VALU_DEP_2)
	v_mul_f64_e32 v[4:5], s[8:9], v[4:5]
	v_and_or_b32 v2, 0x1ff, v3, v2
	s_delay_alu instid0(VALU_DEP_2)
	v_and_or_b32 v4, 0x1ff, v5, v4
	v_lshrrev_b32_e32 v6, 8, v3
	v_bfe_u32 v7, v3, 20, 11
	v_lshrrev_b32_e32 v8, 8, v5
	v_cmp_ne_u32_e32 vcc_lo, 0, v2
	v_bfe_u32 v9, v5, 20, 11
	v_lshrrev_b32_e32 v3, 16, v3
	v_sub_nc_u32_e32 v10, 0x3f1, v7
	v_add_nc_u32_e32 v7, 0xfffffc10, v7
	s_wait_alu 0xfffd
	v_cndmask_b32_e64 v2, 0, 1, vcc_lo
	v_cmp_ne_u32_e32 vcc_lo, 0, v4
	v_lshrrev_b32_e32 v5, 16, v5
	s_delay_alu instid0(VALU_DEP_3) | instskip(SKIP_4) | instid1(VALU_DEP_3)
	v_and_or_b32 v2, 0xffe, v6, v2
	s_wait_alu 0xfffd
	v_cndmask_b32_e64 v4, 0, 1, vcc_lo
	v_sub_nc_u32_e32 v6, 0x3f1, v9
	v_add_nc_u32_e32 v9, 0xfffffc10, v9
	v_and_or_b32 v4, 0xffe, v8, v4
	v_med3_i32 v8, v10, 0, 13
	v_or_b32_e32 v10, 0x1000, v2
	v_med3_i32 v6, v6, 0, 13
	s_delay_alu instid0(VALU_DEP_4) | instskip(NEXT) | instid1(VALU_DEP_3)
	v_or_b32_e32 v11, 0x1000, v4
	v_lshrrev_b32_e32 v12, v8, v10
	s_delay_alu instid0(VALU_DEP_2) | instskip(NEXT) | instid1(VALU_DEP_2)
	v_lshrrev_b32_e32 v13, v6, v11
	v_lshlrev_b32_e32 v8, v8, v12
	s_delay_alu instid0(VALU_DEP_2) | instskip(NEXT) | instid1(VALU_DEP_2)
	v_lshlrev_b32_e32 v6, v6, v13
	v_cmp_ne_u32_e32 vcc_lo, v8, v10
	v_lshl_or_b32 v10, v7, 12, v2
	s_wait_alu 0xfffd
	v_cndmask_b32_e64 v8, 0, 1, vcc_lo
	v_cmp_ne_u32_e32 vcc_lo, v6, v11
	v_lshl_or_b32 v11, v9, 12, v4
	s_delay_alu instid0(VALU_DEP_3) | instskip(SKIP_3) | instid1(VALU_DEP_2)
	v_or_b32_e32 v8, v12, v8
	s_wait_alu 0xfffd
	v_cndmask_b32_e64 v6, 0, 1, vcc_lo
	v_cmp_gt_i32_e32 vcc_lo, 1, v7
	v_or_b32_e32 v6, v13, v6
	s_wait_alu 0xfffd
	v_cndmask_b32_e32 v8, v10, v8, vcc_lo
	v_cmp_gt_i32_e32 vcc_lo, 1, v9
	s_delay_alu instid0(VALU_DEP_2)
	v_and_b32_e32 v10, 7, v8
	s_wait_alu 0xfffd
	v_cndmask_b32_e32 v6, v11, v6, vcc_lo
	v_cmp_ne_u32_e32 vcc_lo, 0, v2
	v_lshrrev_b32_e32 v8, 2, v8
	v_cmp_eq_u32_e64 s0, 3, v10
	s_delay_alu instid0(VALU_DEP_4)
	v_and_b32_e32 v11, 7, v6
	s_wait_alu 0xfffd
	v_cndmask_b32_e64 v2, 0, 1, vcc_lo
	v_cmp_ne_u32_e32 vcc_lo, 0, v4
	v_lshrrev_b32_e32 v6, 2, v6
	v_cmp_lt_i32_e64 s1, 5, v11
	v_cmp_eq_u32_e64 s2, 3, v11
	s_wait_alu 0xfffd
	v_cndmask_b32_e64 v4, 0, 1, vcc_lo
	v_cmp_lt_i32_e32 vcc_lo, 5, v10
	v_lshl_or_b32 v2, v2, 9, 0x7c00
	s_delay_alu instid0(VALU_DEP_3)
	v_lshl_or_b32 v4, v4, 9, 0x7c00
	s_or_b32 vcc_lo, s0, vcc_lo
	s_wait_alu 0xfffe
	v_add_co_ci_u32_e32 v8, vcc_lo, 0, v8, vcc_lo
	s_or_b32 vcc_lo, s2, s1
	s_wait_alu 0xfffe
	v_add_co_ci_u32_e32 v6, vcc_lo, 0, v6, vcc_lo
	v_cmp_gt_i32_e32 vcc_lo, 31, v7
	s_wait_alu 0xfffd
	v_cndmask_b32_e32 v8, 0x7c00, v8, vcc_lo
	v_cmp_gt_i32_e32 vcc_lo, 31, v9
	s_wait_alu 0xfffd
	v_cndmask_b32_e32 v6, 0x7c00, v6, vcc_lo
	v_cmp_eq_u32_e32 vcc_lo, 0x40f, v7
	s_wait_alu 0xfffd
	v_cndmask_b32_e32 v2, v8, v2, vcc_lo
	v_cmp_eq_u32_e32 vcc_lo, 0x40f, v9
	s_delay_alu instid0(VALU_DEP_2)
	v_and_or_b32 v2, 0x8000, v3, v2
	s_wait_alu 0xfffd
	v_cndmask_b32_e32 v4, v6, v4, vcc_lo
	v_add_co_u32 v0, vcc_lo, v0, s4
	s_wait_alu 0xfffd
	v_add_co_ci_u32_e32 v1, vcc_lo, s5, v1, vcc_lo
	s_delay_alu instid0(VALU_DEP_3) | instskip(SKIP_1) | instid1(VALU_DEP_1)
	v_and_or_b32 v3, 0x8000, v5, v4
	v_and_b32_e32 v2, 0xffff, v2
	v_lshl_or_b32 v2, v3, 16, v2
	global_store_b32 v[0:1], v2, off
	global_load_b32 v4, v41, s[12:13] offset:1960
	v_add_nc_u32_e32 v2, 0x600, v43
	ds_load_2addr_b32 v[2:3], v2 offset0:106 offset1:204
	s_wait_dscnt 0x0
	v_lshrrev_b32_e32 v5, 16, v2
	s_wait_loadcnt 0x0
	v_lshrrev_b32_e32 v6, 16, v4
	s_delay_alu instid0(VALU_DEP_1) | instskip(SKIP_1) | instid1(VALU_DEP_2)
	v_mul_f16_e32 v7, v5, v6
	v_mul_f16_e32 v6, v2, v6
	v_fmac_f16_e32 v7, v2, v4
	s_delay_alu instid0(VALU_DEP_2) | instskip(NEXT) | instid1(VALU_DEP_2)
	v_fma_f16 v2, v4, v5, -v6
	v_cvt_f32_f16_e32 v4, v7
	s_delay_alu instid0(VALU_DEP_2) | instskip(NEXT) | instid1(VALU_DEP_2)
	v_cvt_f32_f16_e32 v2, v2
	v_cvt_f64_f32_e32 v[4:5], v4
	s_delay_alu instid0(VALU_DEP_2) | instskip(NEXT) | instid1(VALU_DEP_2)
	v_cvt_f64_f32_e32 v[6:7], v2
	v_mul_f64_e32 v[4:5], s[8:9], v[4:5]
	s_delay_alu instid0(VALU_DEP_2) | instskip(NEXT) | instid1(VALU_DEP_2)
	v_mul_f64_e32 v[6:7], s[8:9], v[6:7]
	v_and_or_b32 v2, 0x1ff, v5, v4
	s_delay_alu instid0(VALU_DEP_2)
	v_and_or_b32 v6, 0x1ff, v7, v6
	v_lshrrev_b32_e32 v4, 8, v5
	v_bfe_u32 v8, v5, 20, 11
	v_lshrrev_b32_e32 v9, 8, v7
	v_cmp_ne_u32_e32 vcc_lo, 0, v2
	v_bfe_u32 v10, v7, 20, 11
	v_lshrrev_b32_e32 v5, 16, v5
	v_sub_nc_u32_e32 v11, 0x3f1, v8
	v_add_nc_u32_e32 v8, 0xfffffc10, v8
	s_wait_alu 0xfffd
	v_cndmask_b32_e64 v2, 0, 1, vcc_lo
	v_cmp_ne_u32_e32 vcc_lo, 0, v6
	v_lshrrev_b32_e32 v7, 16, v7
	s_delay_alu instid0(VALU_DEP_3) | instskip(SKIP_4) | instid1(VALU_DEP_3)
	v_and_or_b32 v2, 0xffe, v4, v2
	s_wait_alu 0xfffd
	v_cndmask_b32_e64 v6, 0, 1, vcc_lo
	v_sub_nc_u32_e32 v4, 0x3f1, v10
	v_add_nc_u32_e32 v10, 0xfffffc10, v10
	v_and_or_b32 v6, 0xffe, v9, v6
	v_med3_i32 v9, v11, 0, 13
	v_or_b32_e32 v11, 0x1000, v2
	v_med3_i32 v4, v4, 0, 13
	s_delay_alu instid0(VALU_DEP_4) | instskip(NEXT) | instid1(VALU_DEP_3)
	v_or_b32_e32 v12, 0x1000, v6
	v_lshrrev_b32_e32 v13, v9, v11
	s_delay_alu instid0(VALU_DEP_2) | instskip(NEXT) | instid1(VALU_DEP_2)
	v_lshrrev_b32_e32 v14, v4, v12
	v_lshlrev_b32_e32 v9, v9, v13
	s_delay_alu instid0(VALU_DEP_2) | instskip(NEXT) | instid1(VALU_DEP_2)
	v_lshlrev_b32_e32 v4, v4, v14
	v_cmp_ne_u32_e32 vcc_lo, v9, v11
	v_lshl_or_b32 v11, v8, 12, v2
	s_wait_alu 0xfffd
	v_cndmask_b32_e64 v9, 0, 1, vcc_lo
	v_cmp_ne_u32_e32 vcc_lo, v4, v12
	v_lshl_or_b32 v12, v10, 12, v6
	s_delay_alu instid0(VALU_DEP_3) | instskip(SKIP_3) | instid1(VALU_DEP_2)
	v_or_b32_e32 v9, v13, v9
	s_wait_alu 0xfffd
	v_cndmask_b32_e64 v4, 0, 1, vcc_lo
	v_cmp_gt_i32_e32 vcc_lo, 1, v8
	v_or_b32_e32 v4, v14, v4
	s_wait_alu 0xfffd
	v_cndmask_b32_e32 v9, v11, v9, vcc_lo
	v_cmp_gt_i32_e32 vcc_lo, 1, v10
	s_wait_alu 0xfffd
	s_delay_alu instid0(VALU_DEP_2) | instskip(SKIP_2) | instid1(VALU_DEP_3)
	v_dual_cndmask_b32 v4, v12, v4 :: v_dual_and_b32 v11, 7, v9
	v_cmp_ne_u32_e32 vcc_lo, 0, v2
	v_lshrrev_b32_e32 v9, 2, v9
	v_cmp_eq_u32_e64 s0, 3, v11
	s_delay_alu instid0(VALU_DEP_4)
	v_and_b32_e32 v12, 7, v4
	s_wait_alu 0xfffd
	v_cndmask_b32_e64 v2, 0, 1, vcc_lo
	v_cmp_ne_u32_e32 vcc_lo, 0, v6
	v_lshrrev_b32_e32 v4, 2, v4
	v_cmp_lt_i32_e64 s1, 5, v12
	v_cmp_eq_u32_e64 s2, 3, v12
	s_wait_alu 0xfffd
	v_cndmask_b32_e64 v6, 0, 1, vcc_lo
	v_cmp_lt_i32_e32 vcc_lo, 5, v11
	v_lshl_or_b32 v2, v2, 9, 0x7c00
	s_delay_alu instid0(VALU_DEP_3)
	v_lshl_or_b32 v6, v6, 9, 0x7c00
	s_or_b32 vcc_lo, s0, vcc_lo
	s_wait_alu 0xfffe
	v_add_co_ci_u32_e32 v9, vcc_lo, 0, v9, vcc_lo
	s_or_b32 vcc_lo, s2, s1
	s_wait_alu 0xfffe
	v_add_co_ci_u32_e32 v4, vcc_lo, 0, v4, vcc_lo
	v_cmp_gt_i32_e32 vcc_lo, 31, v8
	s_wait_alu 0xfffd
	v_cndmask_b32_e32 v9, 0x7c00, v9, vcc_lo
	v_cmp_gt_i32_e32 vcc_lo, 31, v10
	s_wait_alu 0xfffd
	v_cndmask_b32_e32 v4, 0x7c00, v4, vcc_lo
	v_cmp_eq_u32_e32 vcc_lo, 0x40f, v8
	s_wait_alu 0xfffd
	v_cndmask_b32_e32 v2, v9, v2, vcc_lo
	v_cmp_eq_u32_e32 vcc_lo, 0x40f, v10
	s_delay_alu instid0(VALU_DEP_2)
	v_and_or_b32 v2, 0x8000, v5, v2
	s_wait_alu 0xfffd
	v_cndmask_b32_e32 v4, v4, v6, vcc_lo
	v_add_co_u32 v0, vcc_lo, v0, s4
	s_wait_alu 0xfffd
	v_add_co_ci_u32_e32 v1, vcc_lo, s5, v1, vcc_lo
	s_delay_alu instid0(VALU_DEP_3) | instskip(SKIP_1) | instid1(VALU_DEP_1)
	v_and_or_b32 v4, 0x8000, v7, v4
	v_and_b32_e32 v2, 0xffff, v2
	v_lshl_or_b32 v2, v4, 16, v2
	v_lshrrev_b32_e32 v4, 16, v3
	global_store_b32 v[0:1], v2, off
	global_load_b32 v2, v41, s[12:13] offset:2352
	s_wait_loadcnt 0x0
	v_lshrrev_b32_e32 v5, 16, v2
	s_delay_alu instid0(VALU_DEP_1) | instskip(SKIP_1) | instid1(VALU_DEP_2)
	v_mul_f16_e32 v6, v4, v5
	v_mul_f16_e32 v5, v3, v5
	v_fmac_f16_e32 v6, v3, v2
	s_delay_alu instid0(VALU_DEP_2) | instskip(NEXT) | instid1(VALU_DEP_2)
	v_fma_f16 v2, v2, v4, -v5
	v_cvt_f32_f16_e32 v3, v6
	s_delay_alu instid0(VALU_DEP_2) | instskip(NEXT) | instid1(VALU_DEP_2)
	v_cvt_f32_f16_e32 v4, v2
	v_cvt_f64_f32_e32 v[2:3], v3
	s_delay_alu instid0(VALU_DEP_2) | instskip(NEXT) | instid1(VALU_DEP_2)
	v_cvt_f64_f32_e32 v[4:5], v4
	v_mul_f64_e32 v[2:3], s[8:9], v[2:3]
	s_delay_alu instid0(VALU_DEP_2) | instskip(NEXT) | instid1(VALU_DEP_2)
	v_mul_f64_e32 v[4:5], s[8:9], v[4:5]
	v_and_or_b32 v2, 0x1ff, v3, v2
	s_delay_alu instid0(VALU_DEP_2)
	v_and_or_b32 v4, 0x1ff, v5, v4
	v_lshrrev_b32_e32 v6, 8, v3
	v_bfe_u32 v7, v3, 20, 11
	v_lshrrev_b32_e32 v8, 8, v5
	v_cmp_ne_u32_e32 vcc_lo, 0, v2
	v_bfe_u32 v9, v5, 20, 11
	v_lshrrev_b32_e32 v3, 16, v3
	v_sub_nc_u32_e32 v10, 0x3f1, v7
	v_add_nc_u32_e32 v7, 0xfffffc10, v7
	s_wait_alu 0xfffd
	v_cndmask_b32_e64 v2, 0, 1, vcc_lo
	v_cmp_ne_u32_e32 vcc_lo, 0, v4
	v_lshrrev_b32_e32 v5, 16, v5
	s_delay_alu instid0(VALU_DEP_3) | instskip(SKIP_4) | instid1(VALU_DEP_3)
	v_and_or_b32 v2, 0xffe, v6, v2
	s_wait_alu 0xfffd
	v_cndmask_b32_e64 v4, 0, 1, vcc_lo
	v_sub_nc_u32_e32 v6, 0x3f1, v9
	v_add_nc_u32_e32 v9, 0xfffffc10, v9
	v_and_or_b32 v4, 0xffe, v8, v4
	v_med3_i32 v8, v10, 0, 13
	v_or_b32_e32 v10, 0x1000, v2
	v_med3_i32 v6, v6, 0, 13
	s_delay_alu instid0(VALU_DEP_4) | instskip(NEXT) | instid1(VALU_DEP_3)
	v_or_b32_e32 v11, 0x1000, v4
	v_lshrrev_b32_e32 v12, v8, v10
	s_delay_alu instid0(VALU_DEP_2) | instskip(NEXT) | instid1(VALU_DEP_2)
	v_lshrrev_b32_e32 v13, v6, v11
	v_lshlrev_b32_e32 v8, v8, v12
	s_delay_alu instid0(VALU_DEP_2) | instskip(NEXT) | instid1(VALU_DEP_2)
	v_lshlrev_b32_e32 v6, v6, v13
	v_cmp_ne_u32_e32 vcc_lo, v8, v10
	v_lshl_or_b32 v10, v7, 12, v2
	s_wait_alu 0xfffd
	v_cndmask_b32_e64 v8, 0, 1, vcc_lo
	v_cmp_ne_u32_e32 vcc_lo, v6, v11
	v_lshl_or_b32 v11, v9, 12, v4
	s_delay_alu instid0(VALU_DEP_3) | instskip(SKIP_3) | instid1(VALU_DEP_2)
	v_or_b32_e32 v8, v12, v8
	s_wait_alu 0xfffd
	v_cndmask_b32_e64 v6, 0, 1, vcc_lo
	v_cmp_gt_i32_e32 vcc_lo, 1, v7
	v_or_b32_e32 v6, v13, v6
	s_wait_alu 0xfffd
	v_cndmask_b32_e32 v8, v10, v8, vcc_lo
	v_cmp_gt_i32_e32 vcc_lo, 1, v9
	s_delay_alu instid0(VALU_DEP_2)
	v_and_b32_e32 v10, 7, v8
	s_wait_alu 0xfffd
	v_cndmask_b32_e32 v6, v11, v6, vcc_lo
	v_cmp_ne_u32_e32 vcc_lo, 0, v2
	v_lshrrev_b32_e32 v8, 2, v8
	v_cmp_eq_u32_e64 s0, 3, v10
	s_delay_alu instid0(VALU_DEP_4)
	v_and_b32_e32 v11, 7, v6
	s_wait_alu 0xfffd
	v_cndmask_b32_e64 v2, 0, 1, vcc_lo
	v_cmp_ne_u32_e32 vcc_lo, 0, v4
	v_lshrrev_b32_e32 v6, 2, v6
	v_cmp_lt_i32_e64 s1, 5, v11
	v_cmp_eq_u32_e64 s2, 3, v11
	s_wait_alu 0xfffd
	v_cndmask_b32_e64 v4, 0, 1, vcc_lo
	v_cmp_lt_i32_e32 vcc_lo, 5, v10
	v_lshl_or_b32 v2, v2, 9, 0x7c00
	s_delay_alu instid0(VALU_DEP_3)
	v_lshl_or_b32 v4, v4, 9, 0x7c00
	s_or_b32 vcc_lo, s0, vcc_lo
	s_wait_alu 0xfffe
	v_add_co_ci_u32_e32 v8, vcc_lo, 0, v8, vcc_lo
	s_or_b32 vcc_lo, s2, s1
	s_wait_alu 0xfffe
	v_add_co_ci_u32_e32 v6, vcc_lo, 0, v6, vcc_lo
	v_cmp_gt_i32_e32 vcc_lo, 31, v7
	s_wait_alu 0xfffd
	v_cndmask_b32_e32 v8, 0x7c00, v8, vcc_lo
	v_cmp_gt_i32_e32 vcc_lo, 31, v9
	s_wait_alu 0xfffd
	v_cndmask_b32_e32 v6, 0x7c00, v6, vcc_lo
	v_cmp_eq_u32_e32 vcc_lo, 0x40f, v7
	s_wait_alu 0xfffd
	v_cndmask_b32_e32 v2, v8, v2, vcc_lo
	v_cmp_eq_u32_e32 vcc_lo, 0x40f, v9
	s_delay_alu instid0(VALU_DEP_2)
	v_and_or_b32 v2, 0x8000, v3, v2
	s_wait_alu 0xfffd
	v_cndmask_b32_e32 v4, v6, v4, vcc_lo
	v_add_co_u32 v0, vcc_lo, v0, s4
	s_wait_alu 0xfffd
	v_add_co_ci_u32_e32 v1, vcc_lo, s5, v1, vcc_lo
	s_delay_alu instid0(VALU_DEP_3) | instskip(SKIP_1) | instid1(VALU_DEP_1)
	v_and_or_b32 v3, 0x8000, v5, v4
	v_and_b32_e32 v2, 0xffff, v2
	v_lshl_or_b32 v2, v3, 16, v2
	global_store_b32 v[0:1], v2, off
	global_load_b32 v4, v41, s[12:13] offset:2744
	v_add_nc_u32_e32 v2, 0xa00, v43
	ds_load_2addr_b32 v[2:3], v2 offset0:46 offset1:144
	s_wait_dscnt 0x0
	v_lshrrev_b32_e32 v5, 16, v2
	s_wait_loadcnt 0x0
	v_lshrrev_b32_e32 v6, 16, v4
	s_delay_alu instid0(VALU_DEP_1) | instskip(SKIP_1) | instid1(VALU_DEP_2)
	v_mul_f16_e32 v7, v5, v6
	v_mul_f16_e32 v6, v2, v6
	v_fmac_f16_e32 v7, v2, v4
	s_delay_alu instid0(VALU_DEP_2) | instskip(NEXT) | instid1(VALU_DEP_2)
	v_fma_f16 v2, v4, v5, -v6
	v_cvt_f32_f16_e32 v4, v7
	s_delay_alu instid0(VALU_DEP_2) | instskip(NEXT) | instid1(VALU_DEP_2)
	v_cvt_f32_f16_e32 v2, v2
	v_cvt_f64_f32_e32 v[4:5], v4
	s_delay_alu instid0(VALU_DEP_2) | instskip(NEXT) | instid1(VALU_DEP_2)
	v_cvt_f64_f32_e32 v[6:7], v2
	v_mul_f64_e32 v[4:5], s[8:9], v[4:5]
	s_delay_alu instid0(VALU_DEP_2) | instskip(NEXT) | instid1(VALU_DEP_2)
	v_mul_f64_e32 v[6:7], s[8:9], v[6:7]
	v_and_or_b32 v2, 0x1ff, v5, v4
	s_delay_alu instid0(VALU_DEP_2)
	v_and_or_b32 v6, 0x1ff, v7, v6
	v_lshrrev_b32_e32 v4, 8, v5
	v_bfe_u32 v8, v5, 20, 11
	v_lshrrev_b32_e32 v9, 8, v7
	v_cmp_ne_u32_e32 vcc_lo, 0, v2
	v_bfe_u32 v10, v7, 20, 11
	v_lshrrev_b32_e32 v5, 16, v5
	v_sub_nc_u32_e32 v11, 0x3f1, v8
	v_add_nc_u32_e32 v8, 0xfffffc10, v8
	s_wait_alu 0xfffd
	v_cndmask_b32_e64 v2, 0, 1, vcc_lo
	v_cmp_ne_u32_e32 vcc_lo, 0, v6
	v_lshrrev_b32_e32 v7, 16, v7
	s_delay_alu instid0(VALU_DEP_3) | instskip(SKIP_4) | instid1(VALU_DEP_3)
	v_and_or_b32 v2, 0xffe, v4, v2
	s_wait_alu 0xfffd
	v_cndmask_b32_e64 v6, 0, 1, vcc_lo
	v_sub_nc_u32_e32 v4, 0x3f1, v10
	v_add_nc_u32_e32 v10, 0xfffffc10, v10
	v_and_or_b32 v6, 0xffe, v9, v6
	v_med3_i32 v9, v11, 0, 13
	v_or_b32_e32 v11, 0x1000, v2
	v_med3_i32 v4, v4, 0, 13
	s_delay_alu instid0(VALU_DEP_4) | instskip(NEXT) | instid1(VALU_DEP_3)
	v_or_b32_e32 v12, 0x1000, v6
	v_lshrrev_b32_e32 v13, v9, v11
	s_delay_alu instid0(VALU_DEP_2) | instskip(NEXT) | instid1(VALU_DEP_2)
	v_lshrrev_b32_e32 v14, v4, v12
	v_lshlrev_b32_e32 v9, v9, v13
	s_delay_alu instid0(VALU_DEP_2) | instskip(NEXT) | instid1(VALU_DEP_2)
	v_lshlrev_b32_e32 v4, v4, v14
	v_cmp_ne_u32_e32 vcc_lo, v9, v11
	v_lshl_or_b32 v11, v8, 12, v2
	s_wait_alu 0xfffd
	v_cndmask_b32_e64 v9, 0, 1, vcc_lo
	v_cmp_ne_u32_e32 vcc_lo, v4, v12
	v_lshl_or_b32 v12, v10, 12, v6
	s_delay_alu instid0(VALU_DEP_3) | instskip(SKIP_3) | instid1(VALU_DEP_2)
	v_or_b32_e32 v9, v13, v9
	s_wait_alu 0xfffd
	v_cndmask_b32_e64 v4, 0, 1, vcc_lo
	v_cmp_gt_i32_e32 vcc_lo, 1, v8
	v_or_b32_e32 v4, v14, v4
	s_wait_alu 0xfffd
	v_cndmask_b32_e32 v9, v11, v9, vcc_lo
	v_cmp_gt_i32_e32 vcc_lo, 1, v10
	s_wait_alu 0xfffd
	s_delay_alu instid0(VALU_DEP_2) | instskip(SKIP_2) | instid1(VALU_DEP_3)
	v_dual_cndmask_b32 v4, v12, v4 :: v_dual_and_b32 v11, 7, v9
	v_cmp_ne_u32_e32 vcc_lo, 0, v2
	v_lshrrev_b32_e32 v9, 2, v9
	v_cmp_eq_u32_e64 s0, 3, v11
	s_delay_alu instid0(VALU_DEP_4)
	v_and_b32_e32 v12, 7, v4
	s_wait_alu 0xfffd
	v_cndmask_b32_e64 v2, 0, 1, vcc_lo
	v_cmp_ne_u32_e32 vcc_lo, 0, v6
	v_lshrrev_b32_e32 v4, 2, v4
	v_cmp_lt_i32_e64 s1, 5, v12
	v_cmp_eq_u32_e64 s2, 3, v12
	s_wait_alu 0xfffd
	v_cndmask_b32_e64 v6, 0, 1, vcc_lo
	v_cmp_lt_i32_e32 vcc_lo, 5, v11
	v_lshl_or_b32 v2, v2, 9, 0x7c00
	s_delay_alu instid0(VALU_DEP_3)
	v_lshl_or_b32 v6, v6, 9, 0x7c00
	s_or_b32 vcc_lo, s0, vcc_lo
	s_wait_alu 0xfffe
	v_add_co_ci_u32_e32 v9, vcc_lo, 0, v9, vcc_lo
	s_or_b32 vcc_lo, s2, s1
	s_wait_alu 0xfffe
	v_add_co_ci_u32_e32 v4, vcc_lo, 0, v4, vcc_lo
	v_cmp_gt_i32_e32 vcc_lo, 31, v8
	s_wait_alu 0xfffd
	v_cndmask_b32_e32 v9, 0x7c00, v9, vcc_lo
	v_cmp_gt_i32_e32 vcc_lo, 31, v10
	s_wait_alu 0xfffd
	v_cndmask_b32_e32 v4, 0x7c00, v4, vcc_lo
	v_cmp_eq_u32_e32 vcc_lo, 0x40f, v8
	s_wait_alu 0xfffd
	v_cndmask_b32_e32 v2, v9, v2, vcc_lo
	v_cmp_eq_u32_e32 vcc_lo, 0x40f, v10
	s_delay_alu instid0(VALU_DEP_2)
	v_and_or_b32 v2, 0x8000, v5, v2
	s_wait_alu 0xfffd
	v_cndmask_b32_e32 v4, v4, v6, vcc_lo
	v_add_co_u32 v0, vcc_lo, v0, s4
	s_wait_alu 0xfffd
	v_add_co_ci_u32_e32 v1, vcc_lo, s5, v1, vcc_lo
	s_delay_alu instid0(VALU_DEP_3) | instskip(SKIP_1) | instid1(VALU_DEP_1)
	v_and_or_b32 v4, 0x8000, v7, v4
	v_and_b32_e32 v2, 0xffff, v2
	v_lshl_or_b32 v2, v4, 16, v2
	v_lshrrev_b32_e32 v4, 16, v3
	global_store_b32 v[0:1], v2, off
	global_load_b32 v2, v41, s[12:13] offset:3136
	s_wait_loadcnt 0x0
	v_lshrrev_b32_e32 v5, 16, v2
	s_delay_alu instid0(VALU_DEP_1) | instskip(SKIP_1) | instid1(VALU_DEP_2)
	v_mul_f16_e32 v6, v4, v5
	v_mul_f16_e32 v5, v3, v5
	v_fmac_f16_e32 v6, v3, v2
	s_delay_alu instid0(VALU_DEP_2) | instskip(NEXT) | instid1(VALU_DEP_2)
	v_fma_f16 v2, v2, v4, -v5
	v_cvt_f32_f16_e32 v3, v6
	s_delay_alu instid0(VALU_DEP_2) | instskip(NEXT) | instid1(VALU_DEP_2)
	v_cvt_f32_f16_e32 v4, v2
	v_cvt_f64_f32_e32 v[2:3], v3
	s_delay_alu instid0(VALU_DEP_2) | instskip(NEXT) | instid1(VALU_DEP_2)
	v_cvt_f64_f32_e32 v[4:5], v4
	v_mul_f64_e32 v[2:3], s[8:9], v[2:3]
	s_delay_alu instid0(VALU_DEP_2) | instskip(NEXT) | instid1(VALU_DEP_2)
	v_mul_f64_e32 v[4:5], s[8:9], v[4:5]
	v_and_or_b32 v2, 0x1ff, v3, v2
	s_delay_alu instid0(VALU_DEP_2)
	v_and_or_b32 v4, 0x1ff, v5, v4
	v_lshrrev_b32_e32 v6, 8, v3
	v_bfe_u32 v7, v3, 20, 11
	v_lshrrev_b32_e32 v8, 8, v5
	v_cmp_ne_u32_e32 vcc_lo, 0, v2
	v_bfe_u32 v9, v5, 20, 11
	v_lshrrev_b32_e32 v3, 16, v3
	v_sub_nc_u32_e32 v10, 0x3f1, v7
	v_add_nc_u32_e32 v7, 0xfffffc10, v7
	s_wait_alu 0xfffd
	v_cndmask_b32_e64 v2, 0, 1, vcc_lo
	v_cmp_ne_u32_e32 vcc_lo, 0, v4
	v_lshrrev_b32_e32 v5, 16, v5
	s_delay_alu instid0(VALU_DEP_3) | instskip(SKIP_4) | instid1(VALU_DEP_3)
	v_and_or_b32 v2, 0xffe, v6, v2
	s_wait_alu 0xfffd
	v_cndmask_b32_e64 v4, 0, 1, vcc_lo
	v_sub_nc_u32_e32 v6, 0x3f1, v9
	v_add_nc_u32_e32 v9, 0xfffffc10, v9
	v_and_or_b32 v4, 0xffe, v8, v4
	v_med3_i32 v8, v10, 0, 13
	v_or_b32_e32 v10, 0x1000, v2
	v_med3_i32 v6, v6, 0, 13
	s_delay_alu instid0(VALU_DEP_4) | instskip(NEXT) | instid1(VALU_DEP_3)
	v_or_b32_e32 v11, 0x1000, v4
	v_lshrrev_b32_e32 v12, v8, v10
	s_delay_alu instid0(VALU_DEP_2) | instskip(NEXT) | instid1(VALU_DEP_2)
	v_lshrrev_b32_e32 v13, v6, v11
	v_lshlrev_b32_e32 v8, v8, v12
	s_delay_alu instid0(VALU_DEP_2) | instskip(NEXT) | instid1(VALU_DEP_2)
	v_lshlrev_b32_e32 v6, v6, v13
	v_cmp_ne_u32_e32 vcc_lo, v8, v10
	v_lshl_or_b32 v10, v7, 12, v2
	s_wait_alu 0xfffd
	v_cndmask_b32_e64 v8, 0, 1, vcc_lo
	v_cmp_ne_u32_e32 vcc_lo, v6, v11
	v_lshl_or_b32 v11, v9, 12, v4
	s_delay_alu instid0(VALU_DEP_3) | instskip(SKIP_3) | instid1(VALU_DEP_2)
	v_or_b32_e32 v8, v12, v8
	s_wait_alu 0xfffd
	v_cndmask_b32_e64 v6, 0, 1, vcc_lo
	v_cmp_gt_i32_e32 vcc_lo, 1, v7
	v_or_b32_e32 v6, v13, v6
	s_wait_alu 0xfffd
	v_cndmask_b32_e32 v8, v10, v8, vcc_lo
	v_cmp_gt_i32_e32 vcc_lo, 1, v9
	s_delay_alu instid0(VALU_DEP_2)
	v_and_b32_e32 v10, 7, v8
	s_wait_alu 0xfffd
	v_cndmask_b32_e32 v6, v11, v6, vcc_lo
	v_cmp_ne_u32_e32 vcc_lo, 0, v2
	v_lshrrev_b32_e32 v8, 2, v8
	v_cmp_eq_u32_e64 s0, 3, v10
	s_delay_alu instid0(VALU_DEP_4)
	v_and_b32_e32 v11, 7, v6
	s_wait_alu 0xfffd
	v_cndmask_b32_e64 v2, 0, 1, vcc_lo
	v_cmp_ne_u32_e32 vcc_lo, 0, v4
	v_lshrrev_b32_e32 v6, 2, v6
	v_cmp_lt_i32_e64 s1, 5, v11
	v_cmp_eq_u32_e64 s2, 3, v11
	s_wait_alu 0xfffd
	v_cndmask_b32_e64 v4, 0, 1, vcc_lo
	v_cmp_lt_i32_e32 vcc_lo, 5, v10
	v_lshl_or_b32 v2, v2, 9, 0x7c00
	s_delay_alu instid0(VALU_DEP_3)
	v_lshl_or_b32 v4, v4, 9, 0x7c00
	s_or_b32 vcc_lo, s0, vcc_lo
	s_wait_alu 0xfffe
	v_add_co_ci_u32_e32 v8, vcc_lo, 0, v8, vcc_lo
	s_or_b32 vcc_lo, s2, s1
	s_wait_alu 0xfffe
	v_add_co_ci_u32_e32 v6, vcc_lo, 0, v6, vcc_lo
	v_cmp_gt_i32_e32 vcc_lo, 31, v7
	s_wait_alu 0xfffd
	v_cndmask_b32_e32 v8, 0x7c00, v8, vcc_lo
	v_cmp_gt_i32_e32 vcc_lo, 31, v9
	s_wait_alu 0xfffd
	v_cndmask_b32_e32 v6, 0x7c00, v6, vcc_lo
	v_cmp_eq_u32_e32 vcc_lo, 0x40f, v7
	s_wait_alu 0xfffd
	v_cndmask_b32_e32 v2, v8, v2, vcc_lo
	v_cmp_eq_u32_e32 vcc_lo, 0x40f, v9
	s_delay_alu instid0(VALU_DEP_2)
	v_and_or_b32 v2, 0x8000, v3, v2
	s_wait_alu 0xfffd
	v_cndmask_b32_e32 v4, v6, v4, vcc_lo
	v_add_co_u32 v0, vcc_lo, v0, s4
	s_wait_alu 0xfffd
	v_add_co_ci_u32_e32 v1, vcc_lo, s5, v1, vcc_lo
	s_delay_alu instid0(VALU_DEP_3) | instskip(SKIP_1) | instid1(VALU_DEP_1)
	v_and_or_b32 v3, 0x8000, v5, v4
	v_and_b32_e32 v2, 0xffff, v2
	v_lshl_or_b32 v2, v3, 16, v2
	global_store_b32 v[0:1], v2, off
	global_load_b32 v4, v41, s[12:13] offset:3528
	v_add_nc_u32_e32 v2, 0xc00, v43
	ds_load_2addr_b32 v[2:3], v2 offset0:114 offset1:212
	s_wait_dscnt 0x0
	v_lshrrev_b32_e32 v5, 16, v2
	s_wait_loadcnt 0x0
	v_lshrrev_b32_e32 v6, 16, v4
	s_delay_alu instid0(VALU_DEP_1) | instskip(SKIP_1) | instid1(VALU_DEP_2)
	v_mul_f16_e32 v7, v5, v6
	v_mul_f16_e32 v6, v2, v6
	v_fmac_f16_e32 v7, v2, v4
	s_delay_alu instid0(VALU_DEP_2) | instskip(NEXT) | instid1(VALU_DEP_2)
	v_fma_f16 v2, v4, v5, -v6
	v_cvt_f32_f16_e32 v4, v7
	s_delay_alu instid0(VALU_DEP_2) | instskip(NEXT) | instid1(VALU_DEP_2)
	v_cvt_f32_f16_e32 v2, v2
	v_cvt_f64_f32_e32 v[4:5], v4
	s_delay_alu instid0(VALU_DEP_2) | instskip(NEXT) | instid1(VALU_DEP_2)
	v_cvt_f64_f32_e32 v[6:7], v2
	v_mul_f64_e32 v[4:5], s[8:9], v[4:5]
	s_delay_alu instid0(VALU_DEP_2) | instskip(NEXT) | instid1(VALU_DEP_2)
	v_mul_f64_e32 v[6:7], s[8:9], v[6:7]
	v_and_or_b32 v2, 0x1ff, v5, v4
	s_delay_alu instid0(VALU_DEP_2)
	v_and_or_b32 v6, 0x1ff, v7, v6
	v_lshrrev_b32_e32 v4, 8, v5
	v_bfe_u32 v8, v5, 20, 11
	v_lshrrev_b32_e32 v9, 8, v7
	v_cmp_ne_u32_e32 vcc_lo, 0, v2
	v_bfe_u32 v10, v7, 20, 11
	v_lshrrev_b32_e32 v5, 16, v5
	v_sub_nc_u32_e32 v11, 0x3f1, v8
	v_add_nc_u32_e32 v8, 0xfffffc10, v8
	s_wait_alu 0xfffd
	v_cndmask_b32_e64 v2, 0, 1, vcc_lo
	v_cmp_ne_u32_e32 vcc_lo, 0, v6
	v_lshrrev_b32_e32 v7, 16, v7
	s_delay_alu instid0(VALU_DEP_3) | instskip(SKIP_4) | instid1(VALU_DEP_3)
	v_and_or_b32 v2, 0xffe, v4, v2
	s_wait_alu 0xfffd
	v_cndmask_b32_e64 v6, 0, 1, vcc_lo
	v_sub_nc_u32_e32 v4, 0x3f1, v10
	v_add_nc_u32_e32 v10, 0xfffffc10, v10
	v_and_or_b32 v6, 0xffe, v9, v6
	v_med3_i32 v9, v11, 0, 13
	v_or_b32_e32 v11, 0x1000, v2
	v_med3_i32 v4, v4, 0, 13
	s_delay_alu instid0(VALU_DEP_4) | instskip(NEXT) | instid1(VALU_DEP_3)
	v_or_b32_e32 v12, 0x1000, v6
	v_lshrrev_b32_e32 v13, v9, v11
	s_delay_alu instid0(VALU_DEP_2) | instskip(NEXT) | instid1(VALU_DEP_2)
	v_lshrrev_b32_e32 v14, v4, v12
	v_lshlrev_b32_e32 v9, v9, v13
	s_delay_alu instid0(VALU_DEP_2) | instskip(NEXT) | instid1(VALU_DEP_2)
	v_lshlrev_b32_e32 v4, v4, v14
	v_cmp_ne_u32_e32 vcc_lo, v9, v11
	v_lshl_or_b32 v11, v8, 12, v2
	s_wait_alu 0xfffd
	v_cndmask_b32_e64 v9, 0, 1, vcc_lo
	v_cmp_ne_u32_e32 vcc_lo, v4, v12
	v_lshl_or_b32 v12, v10, 12, v6
	s_delay_alu instid0(VALU_DEP_3) | instskip(SKIP_3) | instid1(VALU_DEP_2)
	v_or_b32_e32 v9, v13, v9
	s_wait_alu 0xfffd
	v_cndmask_b32_e64 v4, 0, 1, vcc_lo
	v_cmp_gt_i32_e32 vcc_lo, 1, v8
	v_or_b32_e32 v4, v14, v4
	s_wait_alu 0xfffd
	v_cndmask_b32_e32 v9, v11, v9, vcc_lo
	v_cmp_gt_i32_e32 vcc_lo, 1, v10
	s_wait_alu 0xfffd
	s_delay_alu instid0(VALU_DEP_2) | instskip(SKIP_2) | instid1(VALU_DEP_3)
	v_dual_cndmask_b32 v4, v12, v4 :: v_dual_and_b32 v11, 7, v9
	v_cmp_ne_u32_e32 vcc_lo, 0, v2
	v_lshrrev_b32_e32 v9, 2, v9
	v_cmp_eq_u32_e64 s0, 3, v11
	s_delay_alu instid0(VALU_DEP_4)
	v_and_b32_e32 v12, 7, v4
	s_wait_alu 0xfffd
	v_cndmask_b32_e64 v2, 0, 1, vcc_lo
	v_cmp_ne_u32_e32 vcc_lo, 0, v6
	v_lshrrev_b32_e32 v4, 2, v4
	v_cmp_lt_i32_e64 s1, 5, v12
	v_cmp_eq_u32_e64 s2, 3, v12
	s_wait_alu 0xfffd
	v_cndmask_b32_e64 v6, 0, 1, vcc_lo
	v_cmp_lt_i32_e32 vcc_lo, 5, v11
	v_lshl_or_b32 v2, v2, 9, 0x7c00
	s_delay_alu instid0(VALU_DEP_3)
	v_lshl_or_b32 v6, v6, 9, 0x7c00
	s_or_b32 vcc_lo, s0, vcc_lo
	s_wait_alu 0xfffe
	v_add_co_ci_u32_e32 v9, vcc_lo, 0, v9, vcc_lo
	s_or_b32 vcc_lo, s2, s1
	s_wait_alu 0xfffe
	v_add_co_ci_u32_e32 v4, vcc_lo, 0, v4, vcc_lo
	v_cmp_gt_i32_e32 vcc_lo, 31, v8
	s_wait_alu 0xfffd
	v_cndmask_b32_e32 v9, 0x7c00, v9, vcc_lo
	v_cmp_gt_i32_e32 vcc_lo, 31, v10
	s_wait_alu 0xfffd
	v_cndmask_b32_e32 v4, 0x7c00, v4, vcc_lo
	v_cmp_eq_u32_e32 vcc_lo, 0x40f, v8
	s_wait_alu 0xfffd
	v_cndmask_b32_e32 v2, v9, v2, vcc_lo
	v_cmp_eq_u32_e32 vcc_lo, 0x40f, v10
	s_delay_alu instid0(VALU_DEP_2)
	v_and_or_b32 v2, 0x8000, v5, v2
	s_wait_alu 0xfffd
	v_cndmask_b32_e32 v4, v4, v6, vcc_lo
	v_add_co_u32 v0, vcc_lo, v0, s4
	s_wait_alu 0xfffd
	v_add_co_ci_u32_e32 v1, vcc_lo, s5, v1, vcc_lo
	s_delay_alu instid0(VALU_DEP_3) | instskip(SKIP_1) | instid1(VALU_DEP_1)
	v_and_or_b32 v4, 0x8000, v7, v4
	v_and_b32_e32 v2, 0xffff, v2
	v_lshl_or_b32 v2, v4, 16, v2
	v_lshrrev_b32_e32 v4, 16, v3
	global_store_b32 v[0:1], v2, off
	global_load_b32 v2, v41, s[12:13] offset:3920
	s_wait_loadcnt 0x0
	v_lshrrev_b32_e32 v5, 16, v2
	s_delay_alu instid0(VALU_DEP_1) | instskip(SKIP_1) | instid1(VALU_DEP_2)
	v_mul_f16_e32 v6, v4, v5
	v_mul_f16_e32 v5, v3, v5
	v_fmac_f16_e32 v6, v3, v2
	s_delay_alu instid0(VALU_DEP_2) | instskip(NEXT) | instid1(VALU_DEP_2)
	v_fma_f16 v2, v2, v4, -v5
	v_cvt_f32_f16_e32 v3, v6
	s_delay_alu instid0(VALU_DEP_2) | instskip(NEXT) | instid1(VALU_DEP_2)
	v_cvt_f32_f16_e32 v4, v2
	v_cvt_f64_f32_e32 v[2:3], v3
	s_delay_alu instid0(VALU_DEP_2) | instskip(NEXT) | instid1(VALU_DEP_2)
	v_cvt_f64_f32_e32 v[4:5], v4
	v_mul_f64_e32 v[2:3], s[8:9], v[2:3]
	s_delay_alu instid0(VALU_DEP_2) | instskip(NEXT) | instid1(VALU_DEP_2)
	v_mul_f64_e32 v[4:5], s[8:9], v[4:5]
	v_and_or_b32 v2, 0x1ff, v3, v2
	s_delay_alu instid0(VALU_DEP_2)
	v_and_or_b32 v4, 0x1ff, v5, v4
	v_lshrrev_b32_e32 v6, 8, v3
	v_bfe_u32 v7, v3, 20, 11
	v_lshrrev_b32_e32 v8, 8, v5
	v_cmp_ne_u32_e32 vcc_lo, 0, v2
	v_bfe_u32 v9, v5, 20, 11
	v_lshrrev_b32_e32 v3, 16, v3
	v_sub_nc_u32_e32 v10, 0x3f1, v7
	v_add_nc_u32_e32 v7, 0xfffffc10, v7
	s_wait_alu 0xfffd
	v_cndmask_b32_e64 v2, 0, 1, vcc_lo
	v_cmp_ne_u32_e32 vcc_lo, 0, v4
	v_lshrrev_b32_e32 v5, 16, v5
	s_delay_alu instid0(VALU_DEP_3) | instskip(SKIP_4) | instid1(VALU_DEP_3)
	v_and_or_b32 v2, 0xffe, v6, v2
	s_wait_alu 0xfffd
	v_cndmask_b32_e64 v4, 0, 1, vcc_lo
	v_sub_nc_u32_e32 v6, 0x3f1, v9
	v_add_nc_u32_e32 v9, 0xfffffc10, v9
	v_and_or_b32 v4, 0xffe, v8, v4
	v_med3_i32 v8, v10, 0, 13
	v_or_b32_e32 v10, 0x1000, v2
	v_med3_i32 v6, v6, 0, 13
	s_delay_alu instid0(VALU_DEP_4) | instskip(NEXT) | instid1(VALU_DEP_3)
	v_or_b32_e32 v11, 0x1000, v4
	v_lshrrev_b32_e32 v12, v8, v10
	s_delay_alu instid0(VALU_DEP_2) | instskip(NEXT) | instid1(VALU_DEP_2)
	v_lshrrev_b32_e32 v13, v6, v11
	v_lshlrev_b32_e32 v8, v8, v12
	s_delay_alu instid0(VALU_DEP_2) | instskip(NEXT) | instid1(VALU_DEP_2)
	v_lshlrev_b32_e32 v6, v6, v13
	v_cmp_ne_u32_e32 vcc_lo, v8, v10
	v_lshl_or_b32 v10, v7, 12, v2
	s_wait_alu 0xfffd
	v_cndmask_b32_e64 v8, 0, 1, vcc_lo
	v_cmp_ne_u32_e32 vcc_lo, v6, v11
	v_lshl_or_b32 v11, v9, 12, v4
	s_delay_alu instid0(VALU_DEP_3) | instskip(SKIP_3) | instid1(VALU_DEP_2)
	v_or_b32_e32 v8, v12, v8
	s_wait_alu 0xfffd
	v_cndmask_b32_e64 v6, 0, 1, vcc_lo
	v_cmp_gt_i32_e32 vcc_lo, 1, v7
	v_or_b32_e32 v6, v13, v6
	s_wait_alu 0xfffd
	v_cndmask_b32_e32 v8, v10, v8, vcc_lo
	v_cmp_gt_i32_e32 vcc_lo, 1, v9
	s_delay_alu instid0(VALU_DEP_2)
	v_and_b32_e32 v10, 7, v8
	s_wait_alu 0xfffd
	v_cndmask_b32_e32 v6, v11, v6, vcc_lo
	v_cmp_ne_u32_e32 vcc_lo, 0, v2
	v_lshrrev_b32_e32 v8, 2, v8
	v_cmp_eq_u32_e64 s0, 3, v10
	s_delay_alu instid0(VALU_DEP_4)
	v_and_b32_e32 v11, 7, v6
	s_wait_alu 0xfffd
	v_cndmask_b32_e64 v2, 0, 1, vcc_lo
	v_cmp_ne_u32_e32 vcc_lo, 0, v4
	v_lshrrev_b32_e32 v6, 2, v6
	v_cmp_lt_i32_e64 s1, 5, v11
	v_cmp_eq_u32_e64 s2, 3, v11
	s_wait_alu 0xfffd
	v_cndmask_b32_e64 v4, 0, 1, vcc_lo
	v_cmp_lt_i32_e32 vcc_lo, 5, v10
	v_lshl_or_b32 v2, v2, 9, 0x7c00
	s_delay_alu instid0(VALU_DEP_3)
	v_lshl_or_b32 v4, v4, 9, 0x7c00
	s_or_b32 vcc_lo, s0, vcc_lo
	s_wait_alu 0xfffe
	v_add_co_ci_u32_e32 v8, vcc_lo, 0, v8, vcc_lo
	s_or_b32 vcc_lo, s2, s1
	s_wait_alu 0xfffe
	v_add_co_ci_u32_e32 v6, vcc_lo, 0, v6, vcc_lo
	v_cmp_gt_i32_e32 vcc_lo, 31, v7
	s_wait_alu 0xfffd
	v_cndmask_b32_e32 v8, 0x7c00, v8, vcc_lo
	v_cmp_gt_i32_e32 vcc_lo, 31, v9
	s_wait_alu 0xfffd
	v_cndmask_b32_e32 v6, 0x7c00, v6, vcc_lo
	v_cmp_eq_u32_e32 vcc_lo, 0x40f, v7
	s_wait_alu 0xfffd
	v_cndmask_b32_e32 v2, v8, v2, vcc_lo
	v_cmp_eq_u32_e32 vcc_lo, 0x40f, v9
	s_delay_alu instid0(VALU_DEP_2)
	v_and_or_b32 v2, 0x8000, v3, v2
	s_wait_alu 0xfffd
	v_cndmask_b32_e32 v4, v6, v4, vcc_lo
	v_add_co_u32 v0, vcc_lo, v0, s4
	s_wait_alu 0xfffd
	v_add_co_ci_u32_e32 v1, vcc_lo, s5, v1, vcc_lo
	s_delay_alu instid0(VALU_DEP_3) | instskip(SKIP_1) | instid1(VALU_DEP_1)
	v_and_or_b32 v3, 0x8000, v5, v4
	v_and_b32_e32 v2, 0xffff, v2
	v_lshl_or_b32 v2, v3, 16, v2
	global_store_b32 v[0:1], v2, off
	global_load_b32 v4, v41, s[12:13] offset:4312
	v_add_nc_u32_e32 v2, 0x1000, v43
	ds_load_2addr_b32 v[2:3], v2 offset0:54 offset1:152
	s_wait_dscnt 0x0
	v_lshrrev_b32_e32 v5, 16, v2
	s_wait_loadcnt 0x0
	v_lshrrev_b32_e32 v6, 16, v4
	s_delay_alu instid0(VALU_DEP_1) | instskip(SKIP_1) | instid1(VALU_DEP_2)
	v_mul_f16_e32 v7, v5, v6
	v_mul_f16_e32 v6, v2, v6
	v_fmac_f16_e32 v7, v2, v4
	s_delay_alu instid0(VALU_DEP_2) | instskip(NEXT) | instid1(VALU_DEP_2)
	v_fma_f16 v2, v4, v5, -v6
	v_cvt_f32_f16_e32 v4, v7
	s_delay_alu instid0(VALU_DEP_2) | instskip(NEXT) | instid1(VALU_DEP_2)
	v_cvt_f32_f16_e32 v2, v2
	v_cvt_f64_f32_e32 v[4:5], v4
	s_delay_alu instid0(VALU_DEP_2) | instskip(NEXT) | instid1(VALU_DEP_2)
	v_cvt_f64_f32_e32 v[6:7], v2
	v_mul_f64_e32 v[4:5], s[8:9], v[4:5]
	s_delay_alu instid0(VALU_DEP_2) | instskip(NEXT) | instid1(VALU_DEP_2)
	v_mul_f64_e32 v[6:7], s[8:9], v[6:7]
	v_and_or_b32 v2, 0x1ff, v5, v4
	s_delay_alu instid0(VALU_DEP_2)
	v_and_or_b32 v6, 0x1ff, v7, v6
	v_lshrrev_b32_e32 v4, 8, v5
	v_bfe_u32 v8, v5, 20, 11
	v_lshrrev_b32_e32 v9, 8, v7
	v_cmp_ne_u32_e32 vcc_lo, 0, v2
	v_bfe_u32 v10, v7, 20, 11
	v_lshrrev_b32_e32 v5, 16, v5
	v_sub_nc_u32_e32 v11, 0x3f1, v8
	v_add_nc_u32_e32 v8, 0xfffffc10, v8
	s_wait_alu 0xfffd
	v_cndmask_b32_e64 v2, 0, 1, vcc_lo
	v_cmp_ne_u32_e32 vcc_lo, 0, v6
	v_lshrrev_b32_e32 v7, 16, v7
	s_delay_alu instid0(VALU_DEP_3) | instskip(SKIP_4) | instid1(VALU_DEP_3)
	v_and_or_b32 v2, 0xffe, v4, v2
	s_wait_alu 0xfffd
	v_cndmask_b32_e64 v6, 0, 1, vcc_lo
	v_sub_nc_u32_e32 v4, 0x3f1, v10
	v_add_nc_u32_e32 v10, 0xfffffc10, v10
	v_and_or_b32 v6, 0xffe, v9, v6
	v_med3_i32 v9, v11, 0, 13
	v_or_b32_e32 v11, 0x1000, v2
	v_med3_i32 v4, v4, 0, 13
	s_delay_alu instid0(VALU_DEP_4) | instskip(NEXT) | instid1(VALU_DEP_3)
	v_or_b32_e32 v12, 0x1000, v6
	v_lshrrev_b32_e32 v13, v9, v11
	s_delay_alu instid0(VALU_DEP_2) | instskip(NEXT) | instid1(VALU_DEP_2)
	v_lshrrev_b32_e32 v14, v4, v12
	v_lshlrev_b32_e32 v9, v9, v13
	s_delay_alu instid0(VALU_DEP_2) | instskip(NEXT) | instid1(VALU_DEP_2)
	v_lshlrev_b32_e32 v4, v4, v14
	v_cmp_ne_u32_e32 vcc_lo, v9, v11
	v_lshl_or_b32 v11, v8, 12, v2
	s_wait_alu 0xfffd
	v_cndmask_b32_e64 v9, 0, 1, vcc_lo
	v_cmp_ne_u32_e32 vcc_lo, v4, v12
	v_lshl_or_b32 v12, v10, 12, v6
	s_delay_alu instid0(VALU_DEP_3) | instskip(SKIP_3) | instid1(VALU_DEP_2)
	v_or_b32_e32 v9, v13, v9
	s_wait_alu 0xfffd
	v_cndmask_b32_e64 v4, 0, 1, vcc_lo
	v_cmp_gt_i32_e32 vcc_lo, 1, v8
	v_or_b32_e32 v4, v14, v4
	s_wait_alu 0xfffd
	v_cndmask_b32_e32 v9, v11, v9, vcc_lo
	v_cmp_gt_i32_e32 vcc_lo, 1, v10
	s_wait_alu 0xfffd
	s_delay_alu instid0(VALU_DEP_2) | instskip(SKIP_2) | instid1(VALU_DEP_3)
	v_dual_cndmask_b32 v4, v12, v4 :: v_dual_and_b32 v11, 7, v9
	v_cmp_ne_u32_e32 vcc_lo, 0, v2
	v_lshrrev_b32_e32 v9, 2, v9
	v_cmp_eq_u32_e64 s0, 3, v11
	s_delay_alu instid0(VALU_DEP_4)
	v_and_b32_e32 v12, 7, v4
	s_wait_alu 0xfffd
	v_cndmask_b32_e64 v2, 0, 1, vcc_lo
	v_cmp_ne_u32_e32 vcc_lo, 0, v6
	v_lshrrev_b32_e32 v4, 2, v4
	v_cmp_lt_i32_e64 s1, 5, v12
	v_cmp_eq_u32_e64 s2, 3, v12
	s_wait_alu 0xfffd
	v_cndmask_b32_e64 v6, 0, 1, vcc_lo
	v_cmp_lt_i32_e32 vcc_lo, 5, v11
	v_lshl_or_b32 v2, v2, 9, 0x7c00
	s_delay_alu instid0(VALU_DEP_3)
	v_lshl_or_b32 v6, v6, 9, 0x7c00
	s_or_b32 vcc_lo, s0, vcc_lo
	s_wait_alu 0xfffe
	v_add_co_ci_u32_e32 v9, vcc_lo, 0, v9, vcc_lo
	s_or_b32 vcc_lo, s2, s1
	s_wait_alu 0xfffe
	v_add_co_ci_u32_e32 v4, vcc_lo, 0, v4, vcc_lo
	v_cmp_gt_i32_e32 vcc_lo, 31, v8
	s_wait_alu 0xfffd
	v_cndmask_b32_e32 v9, 0x7c00, v9, vcc_lo
	v_cmp_gt_i32_e32 vcc_lo, 31, v10
	s_wait_alu 0xfffd
	v_cndmask_b32_e32 v4, 0x7c00, v4, vcc_lo
	v_cmp_eq_u32_e32 vcc_lo, 0x40f, v8
	s_wait_alu 0xfffd
	v_cndmask_b32_e32 v2, v9, v2, vcc_lo
	v_cmp_eq_u32_e32 vcc_lo, 0x40f, v10
	s_delay_alu instid0(VALU_DEP_2)
	v_and_or_b32 v2, 0x8000, v5, v2
	s_wait_alu 0xfffd
	v_cndmask_b32_e32 v4, v4, v6, vcc_lo
	v_add_co_u32 v0, vcc_lo, v0, s4
	s_wait_alu 0xfffd
	v_add_co_ci_u32_e32 v1, vcc_lo, s5, v1, vcc_lo
	s_delay_alu instid0(VALU_DEP_3) | instskip(SKIP_1) | instid1(VALU_DEP_1)
	v_and_or_b32 v4, 0x8000, v7, v4
	v_and_b32_e32 v2, 0xffff, v2
	v_lshl_or_b32 v2, v4, 16, v2
	v_lshrrev_b32_e32 v4, 16, v3
	global_store_b32 v[0:1], v2, off
	global_load_b32 v2, v41, s[12:13] offset:4704
	s_wait_loadcnt 0x0
	v_lshrrev_b32_e32 v5, 16, v2
	s_delay_alu instid0(VALU_DEP_1) | instskip(SKIP_1) | instid1(VALU_DEP_2)
	v_mul_f16_e32 v6, v4, v5
	v_mul_f16_e32 v5, v3, v5
	v_fmac_f16_e32 v6, v3, v2
	s_delay_alu instid0(VALU_DEP_2) | instskip(NEXT) | instid1(VALU_DEP_2)
	v_fma_f16 v2, v2, v4, -v5
	v_cvt_f32_f16_e32 v3, v6
	s_delay_alu instid0(VALU_DEP_2) | instskip(NEXT) | instid1(VALU_DEP_2)
	v_cvt_f32_f16_e32 v4, v2
	v_cvt_f64_f32_e32 v[2:3], v3
	s_delay_alu instid0(VALU_DEP_2) | instskip(NEXT) | instid1(VALU_DEP_2)
	v_cvt_f64_f32_e32 v[4:5], v4
	v_mul_f64_e32 v[2:3], s[8:9], v[2:3]
	s_delay_alu instid0(VALU_DEP_2) | instskip(NEXT) | instid1(VALU_DEP_2)
	v_mul_f64_e32 v[4:5], s[8:9], v[4:5]
	v_and_or_b32 v2, 0x1ff, v3, v2
	s_delay_alu instid0(VALU_DEP_2)
	v_and_or_b32 v4, 0x1ff, v5, v4
	v_lshrrev_b32_e32 v6, 8, v3
	v_bfe_u32 v7, v3, 20, 11
	v_lshrrev_b32_e32 v8, 8, v5
	v_cmp_ne_u32_e32 vcc_lo, 0, v2
	v_bfe_u32 v9, v5, 20, 11
	v_lshrrev_b32_e32 v3, 16, v3
	v_sub_nc_u32_e32 v10, 0x3f1, v7
	v_add_nc_u32_e32 v7, 0xfffffc10, v7
	s_wait_alu 0xfffd
	v_cndmask_b32_e64 v2, 0, 1, vcc_lo
	v_cmp_ne_u32_e32 vcc_lo, 0, v4
	v_lshrrev_b32_e32 v5, 16, v5
	s_delay_alu instid0(VALU_DEP_3) | instskip(SKIP_4) | instid1(VALU_DEP_3)
	v_and_or_b32 v2, 0xffe, v6, v2
	s_wait_alu 0xfffd
	v_cndmask_b32_e64 v4, 0, 1, vcc_lo
	v_sub_nc_u32_e32 v6, 0x3f1, v9
	v_add_nc_u32_e32 v9, 0xfffffc10, v9
	v_and_or_b32 v4, 0xffe, v8, v4
	v_med3_i32 v8, v10, 0, 13
	v_or_b32_e32 v10, 0x1000, v2
	v_med3_i32 v6, v6, 0, 13
	s_delay_alu instid0(VALU_DEP_4) | instskip(NEXT) | instid1(VALU_DEP_3)
	v_or_b32_e32 v11, 0x1000, v4
	v_lshrrev_b32_e32 v12, v8, v10
	s_delay_alu instid0(VALU_DEP_2) | instskip(NEXT) | instid1(VALU_DEP_2)
	v_lshrrev_b32_e32 v13, v6, v11
	v_lshlrev_b32_e32 v8, v8, v12
	s_delay_alu instid0(VALU_DEP_2) | instskip(NEXT) | instid1(VALU_DEP_2)
	v_lshlrev_b32_e32 v6, v6, v13
	v_cmp_ne_u32_e32 vcc_lo, v8, v10
	v_lshl_or_b32 v10, v7, 12, v2
	s_wait_alu 0xfffd
	v_cndmask_b32_e64 v8, 0, 1, vcc_lo
	v_cmp_ne_u32_e32 vcc_lo, v6, v11
	v_lshl_or_b32 v11, v9, 12, v4
	s_delay_alu instid0(VALU_DEP_3) | instskip(SKIP_3) | instid1(VALU_DEP_2)
	v_or_b32_e32 v8, v12, v8
	s_wait_alu 0xfffd
	v_cndmask_b32_e64 v6, 0, 1, vcc_lo
	v_cmp_gt_i32_e32 vcc_lo, 1, v7
	v_or_b32_e32 v6, v13, v6
	s_wait_alu 0xfffd
	v_cndmask_b32_e32 v8, v10, v8, vcc_lo
	v_cmp_gt_i32_e32 vcc_lo, 1, v9
	s_delay_alu instid0(VALU_DEP_2)
	v_and_b32_e32 v10, 7, v8
	s_wait_alu 0xfffd
	v_cndmask_b32_e32 v6, v11, v6, vcc_lo
	v_cmp_ne_u32_e32 vcc_lo, 0, v2
	v_lshrrev_b32_e32 v8, 2, v8
	v_cmp_eq_u32_e64 s0, 3, v10
	s_delay_alu instid0(VALU_DEP_4)
	v_and_b32_e32 v11, 7, v6
	s_wait_alu 0xfffd
	v_cndmask_b32_e64 v2, 0, 1, vcc_lo
	v_cmp_ne_u32_e32 vcc_lo, 0, v4
	v_lshrrev_b32_e32 v6, 2, v6
	v_cmp_lt_i32_e64 s1, 5, v11
	v_cmp_eq_u32_e64 s2, 3, v11
	s_wait_alu 0xfffd
	v_cndmask_b32_e64 v4, 0, 1, vcc_lo
	v_cmp_lt_i32_e32 vcc_lo, 5, v10
	v_lshl_or_b32 v2, v2, 9, 0x7c00
	s_delay_alu instid0(VALU_DEP_3)
	v_lshl_or_b32 v4, v4, 9, 0x7c00
	s_or_b32 vcc_lo, s0, vcc_lo
	s_wait_alu 0xfffe
	v_add_co_ci_u32_e32 v8, vcc_lo, 0, v8, vcc_lo
	s_or_b32 vcc_lo, s2, s1
	s_wait_alu 0xfffe
	v_add_co_ci_u32_e32 v6, vcc_lo, 0, v6, vcc_lo
	v_cmp_gt_i32_e32 vcc_lo, 31, v7
	s_wait_alu 0xfffd
	v_cndmask_b32_e32 v8, 0x7c00, v8, vcc_lo
	v_cmp_gt_i32_e32 vcc_lo, 31, v9
	s_wait_alu 0xfffd
	v_cndmask_b32_e32 v6, 0x7c00, v6, vcc_lo
	v_cmp_eq_u32_e32 vcc_lo, 0x40f, v7
	s_wait_alu 0xfffd
	v_cndmask_b32_e32 v2, v8, v2, vcc_lo
	v_cmp_eq_u32_e32 vcc_lo, 0x40f, v9
	s_delay_alu instid0(VALU_DEP_2)
	v_and_or_b32 v2, 0x8000, v3, v2
	s_wait_alu 0xfffd
	v_cndmask_b32_e32 v4, v6, v4, vcc_lo
	v_add_co_u32 v0, vcc_lo, v0, s4
	s_wait_alu 0xfffd
	v_add_co_ci_u32_e32 v1, vcc_lo, s5, v1, vcc_lo
	s_delay_alu instid0(VALU_DEP_3) | instskip(SKIP_1) | instid1(VALU_DEP_1)
	v_and_or_b32 v3, 0x8000, v5, v4
	v_and_b32_e32 v2, 0xffff, v2
	v_lshl_or_b32 v2, v3, 16, v2
	global_store_b32 v[0:1], v2, off
	global_load_b32 v4, v41, s[12:13] offset:5096
	v_add_nc_u32_e32 v2, 0x1200, v43
	ds_load_2addr_b32 v[2:3], v2 offset0:122 offset1:220
	s_wait_dscnt 0x0
	v_lshrrev_b32_e32 v5, 16, v2
	s_wait_loadcnt 0x0
	v_lshrrev_b32_e32 v6, 16, v4
	s_delay_alu instid0(VALU_DEP_1) | instskip(SKIP_1) | instid1(VALU_DEP_2)
	v_mul_f16_e32 v7, v5, v6
	v_mul_f16_e32 v6, v2, v6
	v_fmac_f16_e32 v7, v2, v4
	s_delay_alu instid0(VALU_DEP_2) | instskip(NEXT) | instid1(VALU_DEP_2)
	v_fma_f16 v2, v4, v5, -v6
	v_cvt_f32_f16_e32 v4, v7
	s_delay_alu instid0(VALU_DEP_2) | instskip(NEXT) | instid1(VALU_DEP_2)
	v_cvt_f32_f16_e32 v2, v2
	v_cvt_f64_f32_e32 v[4:5], v4
	s_delay_alu instid0(VALU_DEP_2) | instskip(NEXT) | instid1(VALU_DEP_2)
	v_cvt_f64_f32_e32 v[6:7], v2
	v_mul_f64_e32 v[4:5], s[8:9], v[4:5]
	s_delay_alu instid0(VALU_DEP_2) | instskip(NEXT) | instid1(VALU_DEP_2)
	v_mul_f64_e32 v[6:7], s[8:9], v[6:7]
	v_and_or_b32 v2, 0x1ff, v5, v4
	s_delay_alu instid0(VALU_DEP_2)
	v_and_or_b32 v6, 0x1ff, v7, v6
	v_lshrrev_b32_e32 v4, 8, v5
	v_bfe_u32 v8, v5, 20, 11
	v_lshrrev_b32_e32 v9, 8, v7
	v_cmp_ne_u32_e32 vcc_lo, 0, v2
	v_bfe_u32 v10, v7, 20, 11
	v_lshrrev_b32_e32 v5, 16, v5
	v_sub_nc_u32_e32 v11, 0x3f1, v8
	v_add_nc_u32_e32 v8, 0xfffffc10, v8
	s_wait_alu 0xfffd
	v_cndmask_b32_e64 v2, 0, 1, vcc_lo
	v_cmp_ne_u32_e32 vcc_lo, 0, v6
	v_lshrrev_b32_e32 v7, 16, v7
	s_delay_alu instid0(VALU_DEP_3) | instskip(SKIP_4) | instid1(VALU_DEP_3)
	v_and_or_b32 v2, 0xffe, v4, v2
	s_wait_alu 0xfffd
	v_cndmask_b32_e64 v6, 0, 1, vcc_lo
	v_sub_nc_u32_e32 v4, 0x3f1, v10
	v_add_nc_u32_e32 v10, 0xfffffc10, v10
	v_and_or_b32 v6, 0xffe, v9, v6
	v_med3_i32 v9, v11, 0, 13
	v_or_b32_e32 v11, 0x1000, v2
	v_med3_i32 v4, v4, 0, 13
	s_delay_alu instid0(VALU_DEP_4) | instskip(NEXT) | instid1(VALU_DEP_3)
	v_or_b32_e32 v12, 0x1000, v6
	v_lshrrev_b32_e32 v13, v9, v11
	s_delay_alu instid0(VALU_DEP_2) | instskip(NEXT) | instid1(VALU_DEP_2)
	v_lshrrev_b32_e32 v14, v4, v12
	v_lshlrev_b32_e32 v9, v9, v13
	s_delay_alu instid0(VALU_DEP_2) | instskip(NEXT) | instid1(VALU_DEP_2)
	v_lshlrev_b32_e32 v4, v4, v14
	v_cmp_ne_u32_e32 vcc_lo, v9, v11
	v_lshl_or_b32 v11, v8, 12, v2
	s_wait_alu 0xfffd
	v_cndmask_b32_e64 v9, 0, 1, vcc_lo
	v_cmp_ne_u32_e32 vcc_lo, v4, v12
	v_lshl_or_b32 v12, v10, 12, v6
	s_delay_alu instid0(VALU_DEP_3) | instskip(SKIP_3) | instid1(VALU_DEP_2)
	v_or_b32_e32 v9, v13, v9
	s_wait_alu 0xfffd
	v_cndmask_b32_e64 v4, 0, 1, vcc_lo
	v_cmp_gt_i32_e32 vcc_lo, 1, v8
	v_or_b32_e32 v4, v14, v4
	s_wait_alu 0xfffd
	v_cndmask_b32_e32 v9, v11, v9, vcc_lo
	v_cmp_gt_i32_e32 vcc_lo, 1, v10
	s_wait_alu 0xfffd
	s_delay_alu instid0(VALU_DEP_2) | instskip(SKIP_2) | instid1(VALU_DEP_3)
	v_dual_cndmask_b32 v4, v12, v4 :: v_dual_and_b32 v11, 7, v9
	v_cmp_ne_u32_e32 vcc_lo, 0, v2
	v_lshrrev_b32_e32 v9, 2, v9
	v_cmp_eq_u32_e64 s0, 3, v11
	s_delay_alu instid0(VALU_DEP_4)
	v_and_b32_e32 v12, 7, v4
	s_wait_alu 0xfffd
	v_cndmask_b32_e64 v2, 0, 1, vcc_lo
	v_cmp_ne_u32_e32 vcc_lo, 0, v6
	v_lshrrev_b32_e32 v4, 2, v4
	v_cmp_lt_i32_e64 s1, 5, v12
	v_cmp_eq_u32_e64 s2, 3, v12
	s_wait_alu 0xfffd
	v_cndmask_b32_e64 v6, 0, 1, vcc_lo
	v_cmp_lt_i32_e32 vcc_lo, 5, v11
	v_lshl_or_b32 v2, v2, 9, 0x7c00
	s_delay_alu instid0(VALU_DEP_3)
	v_lshl_or_b32 v6, v6, 9, 0x7c00
	s_or_b32 vcc_lo, s0, vcc_lo
	s_wait_alu 0xfffe
	v_add_co_ci_u32_e32 v9, vcc_lo, 0, v9, vcc_lo
	s_or_b32 vcc_lo, s2, s1
	s_wait_alu 0xfffe
	v_add_co_ci_u32_e32 v4, vcc_lo, 0, v4, vcc_lo
	v_cmp_gt_i32_e32 vcc_lo, 31, v8
	s_wait_alu 0xfffd
	v_cndmask_b32_e32 v9, 0x7c00, v9, vcc_lo
	v_cmp_gt_i32_e32 vcc_lo, 31, v10
	s_wait_alu 0xfffd
	v_cndmask_b32_e32 v4, 0x7c00, v4, vcc_lo
	v_cmp_eq_u32_e32 vcc_lo, 0x40f, v8
	s_wait_alu 0xfffd
	v_cndmask_b32_e32 v2, v9, v2, vcc_lo
	v_cmp_eq_u32_e32 vcc_lo, 0x40f, v10
	s_delay_alu instid0(VALU_DEP_2)
	v_and_or_b32 v2, 0x8000, v5, v2
	s_wait_alu 0xfffd
	v_cndmask_b32_e32 v4, v4, v6, vcc_lo
	v_add_co_u32 v0, vcc_lo, v0, s4
	s_wait_alu 0xfffd
	v_add_co_ci_u32_e32 v1, vcc_lo, s5, v1, vcc_lo
	s_delay_alu instid0(VALU_DEP_3) | instskip(SKIP_1) | instid1(VALU_DEP_1)
	v_and_or_b32 v4, 0x8000, v7, v4
	v_and_b32_e32 v2, 0xffff, v2
	v_lshl_or_b32 v2, v4, 16, v2
	v_lshrrev_b32_e32 v4, 16, v3
	global_store_b32 v[0:1], v2, off
	global_load_b32 v2, v41, s[12:13] offset:5488
	s_wait_loadcnt 0x0
	v_lshrrev_b32_e32 v5, 16, v2
	s_delay_alu instid0(VALU_DEP_1) | instskip(SKIP_1) | instid1(VALU_DEP_2)
	v_mul_f16_e32 v6, v4, v5
	v_mul_f16_e32 v5, v3, v5
	v_fmac_f16_e32 v6, v3, v2
	s_delay_alu instid0(VALU_DEP_2) | instskip(NEXT) | instid1(VALU_DEP_2)
	v_fma_f16 v2, v2, v4, -v5
	v_cvt_f32_f16_e32 v3, v6
	s_delay_alu instid0(VALU_DEP_2) | instskip(NEXT) | instid1(VALU_DEP_2)
	v_cvt_f32_f16_e32 v4, v2
	v_cvt_f64_f32_e32 v[2:3], v3
	s_delay_alu instid0(VALU_DEP_2) | instskip(NEXT) | instid1(VALU_DEP_2)
	v_cvt_f64_f32_e32 v[4:5], v4
	v_mul_f64_e32 v[2:3], s[8:9], v[2:3]
	s_delay_alu instid0(VALU_DEP_2) | instskip(NEXT) | instid1(VALU_DEP_2)
	v_mul_f64_e32 v[4:5], s[8:9], v[4:5]
	v_and_or_b32 v2, 0x1ff, v3, v2
	s_delay_alu instid0(VALU_DEP_2)
	v_and_or_b32 v4, 0x1ff, v5, v4
	v_lshrrev_b32_e32 v6, 8, v3
	v_bfe_u32 v7, v3, 20, 11
	v_lshrrev_b32_e32 v8, 8, v5
	v_cmp_ne_u32_e32 vcc_lo, 0, v2
	v_bfe_u32 v9, v5, 20, 11
	v_lshrrev_b32_e32 v3, 16, v3
	v_sub_nc_u32_e32 v10, 0x3f1, v7
	v_add_nc_u32_e32 v7, 0xfffffc10, v7
	s_wait_alu 0xfffd
	v_cndmask_b32_e64 v2, 0, 1, vcc_lo
	v_cmp_ne_u32_e32 vcc_lo, 0, v4
	v_lshrrev_b32_e32 v5, 16, v5
	s_delay_alu instid0(VALU_DEP_3) | instskip(SKIP_4) | instid1(VALU_DEP_3)
	v_and_or_b32 v2, 0xffe, v6, v2
	s_wait_alu 0xfffd
	v_cndmask_b32_e64 v4, 0, 1, vcc_lo
	v_sub_nc_u32_e32 v6, 0x3f1, v9
	v_add_nc_u32_e32 v9, 0xfffffc10, v9
	v_and_or_b32 v4, 0xffe, v8, v4
	v_med3_i32 v8, v10, 0, 13
	v_or_b32_e32 v10, 0x1000, v2
	v_med3_i32 v6, v6, 0, 13
	s_delay_alu instid0(VALU_DEP_4) | instskip(NEXT) | instid1(VALU_DEP_3)
	v_or_b32_e32 v11, 0x1000, v4
	v_lshrrev_b32_e32 v12, v8, v10
	s_delay_alu instid0(VALU_DEP_2) | instskip(NEXT) | instid1(VALU_DEP_2)
	v_lshrrev_b32_e32 v13, v6, v11
	v_lshlrev_b32_e32 v8, v8, v12
	s_delay_alu instid0(VALU_DEP_2) | instskip(NEXT) | instid1(VALU_DEP_2)
	v_lshlrev_b32_e32 v6, v6, v13
	v_cmp_ne_u32_e32 vcc_lo, v8, v10
	v_lshl_or_b32 v10, v7, 12, v2
	s_wait_alu 0xfffd
	v_cndmask_b32_e64 v8, 0, 1, vcc_lo
	v_cmp_ne_u32_e32 vcc_lo, v6, v11
	v_lshl_or_b32 v11, v9, 12, v4
	s_delay_alu instid0(VALU_DEP_3) | instskip(SKIP_3) | instid1(VALU_DEP_2)
	v_or_b32_e32 v8, v12, v8
	s_wait_alu 0xfffd
	v_cndmask_b32_e64 v6, 0, 1, vcc_lo
	v_cmp_gt_i32_e32 vcc_lo, 1, v7
	v_or_b32_e32 v6, v13, v6
	s_wait_alu 0xfffd
	v_cndmask_b32_e32 v8, v10, v8, vcc_lo
	v_cmp_gt_i32_e32 vcc_lo, 1, v9
	s_delay_alu instid0(VALU_DEP_2)
	v_and_b32_e32 v10, 7, v8
	s_wait_alu 0xfffd
	v_cndmask_b32_e32 v6, v11, v6, vcc_lo
	v_cmp_ne_u32_e32 vcc_lo, 0, v2
	v_lshrrev_b32_e32 v8, 2, v8
	v_cmp_eq_u32_e64 s0, 3, v10
	s_delay_alu instid0(VALU_DEP_4)
	v_and_b32_e32 v11, 7, v6
	s_wait_alu 0xfffd
	v_cndmask_b32_e64 v2, 0, 1, vcc_lo
	v_cmp_ne_u32_e32 vcc_lo, 0, v4
	v_lshrrev_b32_e32 v6, 2, v6
	v_cmp_lt_i32_e64 s1, 5, v11
	v_cmp_eq_u32_e64 s2, 3, v11
	s_wait_alu 0xfffd
	v_cndmask_b32_e64 v4, 0, 1, vcc_lo
	v_cmp_lt_i32_e32 vcc_lo, 5, v10
	v_lshl_or_b32 v2, v2, 9, 0x7c00
	s_delay_alu instid0(VALU_DEP_3)
	v_lshl_or_b32 v4, v4, 9, 0x7c00
	s_or_b32 vcc_lo, s0, vcc_lo
	s_wait_alu 0xfffe
	v_add_co_ci_u32_e32 v8, vcc_lo, 0, v8, vcc_lo
	s_or_b32 vcc_lo, s2, s1
	s_wait_alu 0xfffe
	v_add_co_ci_u32_e32 v6, vcc_lo, 0, v6, vcc_lo
	v_cmp_gt_i32_e32 vcc_lo, 31, v7
	s_wait_alu 0xfffd
	v_cndmask_b32_e32 v8, 0x7c00, v8, vcc_lo
	v_cmp_gt_i32_e32 vcc_lo, 31, v9
	s_wait_alu 0xfffd
	v_cndmask_b32_e32 v6, 0x7c00, v6, vcc_lo
	v_cmp_eq_u32_e32 vcc_lo, 0x40f, v7
	s_wait_alu 0xfffd
	v_cndmask_b32_e32 v2, v8, v2, vcc_lo
	v_cmp_eq_u32_e32 vcc_lo, 0x40f, v9
	s_delay_alu instid0(VALU_DEP_2)
	v_and_or_b32 v2, 0x8000, v3, v2
	s_wait_alu 0xfffd
	v_cndmask_b32_e32 v4, v6, v4, vcc_lo
	v_add_co_u32 v0, vcc_lo, v0, s4
	s_wait_alu 0xfffd
	v_add_co_ci_u32_e32 v1, vcc_lo, s5, v1, vcc_lo
	s_delay_alu instid0(VALU_DEP_3) | instskip(SKIP_1) | instid1(VALU_DEP_1)
	v_and_or_b32 v3, 0x8000, v5, v4
	v_and_b32_e32 v2, 0xffff, v2
	v_lshl_or_b32 v2, v3, 16, v2
	global_store_b32 v[0:1], v2, off
	global_load_b32 v4, v41, s[12:13] offset:5880
	v_add_nc_u32_e32 v2, 0x1600, v43
	ds_load_2addr_b32 v[2:3], v2 offset0:62 offset1:160
	s_wait_dscnt 0x0
	v_lshrrev_b32_e32 v5, 16, v2
	s_wait_loadcnt 0x0
	v_lshrrev_b32_e32 v6, 16, v4
	s_delay_alu instid0(VALU_DEP_1) | instskip(SKIP_1) | instid1(VALU_DEP_2)
	v_mul_f16_e32 v7, v5, v6
	v_mul_f16_e32 v6, v2, v6
	v_fmac_f16_e32 v7, v2, v4
	s_delay_alu instid0(VALU_DEP_2) | instskip(NEXT) | instid1(VALU_DEP_2)
	v_fma_f16 v2, v4, v5, -v6
	v_cvt_f32_f16_e32 v4, v7
	s_delay_alu instid0(VALU_DEP_2) | instskip(NEXT) | instid1(VALU_DEP_2)
	v_cvt_f32_f16_e32 v2, v2
	v_cvt_f64_f32_e32 v[4:5], v4
	s_delay_alu instid0(VALU_DEP_2) | instskip(NEXT) | instid1(VALU_DEP_2)
	v_cvt_f64_f32_e32 v[6:7], v2
	v_mul_f64_e32 v[4:5], s[8:9], v[4:5]
	s_delay_alu instid0(VALU_DEP_2) | instskip(NEXT) | instid1(VALU_DEP_2)
	v_mul_f64_e32 v[6:7], s[8:9], v[6:7]
	v_and_or_b32 v2, 0x1ff, v5, v4
	s_delay_alu instid0(VALU_DEP_2)
	v_and_or_b32 v6, 0x1ff, v7, v6
	v_lshrrev_b32_e32 v4, 8, v5
	v_bfe_u32 v8, v5, 20, 11
	v_lshrrev_b32_e32 v9, 8, v7
	v_cmp_ne_u32_e32 vcc_lo, 0, v2
	v_bfe_u32 v10, v7, 20, 11
	v_lshrrev_b32_e32 v5, 16, v5
	v_sub_nc_u32_e32 v11, 0x3f1, v8
	v_add_nc_u32_e32 v8, 0xfffffc10, v8
	s_wait_alu 0xfffd
	v_cndmask_b32_e64 v2, 0, 1, vcc_lo
	v_cmp_ne_u32_e32 vcc_lo, 0, v6
	v_lshrrev_b32_e32 v7, 16, v7
	s_delay_alu instid0(VALU_DEP_3) | instskip(SKIP_4) | instid1(VALU_DEP_3)
	v_and_or_b32 v2, 0xffe, v4, v2
	s_wait_alu 0xfffd
	v_cndmask_b32_e64 v6, 0, 1, vcc_lo
	v_sub_nc_u32_e32 v4, 0x3f1, v10
	v_add_nc_u32_e32 v10, 0xfffffc10, v10
	v_and_or_b32 v6, 0xffe, v9, v6
	v_med3_i32 v9, v11, 0, 13
	v_or_b32_e32 v11, 0x1000, v2
	v_med3_i32 v4, v4, 0, 13
	s_delay_alu instid0(VALU_DEP_4) | instskip(NEXT) | instid1(VALU_DEP_3)
	v_or_b32_e32 v12, 0x1000, v6
	v_lshrrev_b32_e32 v13, v9, v11
	s_delay_alu instid0(VALU_DEP_2) | instskip(NEXT) | instid1(VALU_DEP_2)
	v_lshrrev_b32_e32 v14, v4, v12
	v_lshlrev_b32_e32 v9, v9, v13
	s_delay_alu instid0(VALU_DEP_2) | instskip(NEXT) | instid1(VALU_DEP_2)
	v_lshlrev_b32_e32 v4, v4, v14
	v_cmp_ne_u32_e32 vcc_lo, v9, v11
	v_lshl_or_b32 v11, v8, 12, v2
	s_wait_alu 0xfffd
	v_cndmask_b32_e64 v9, 0, 1, vcc_lo
	v_cmp_ne_u32_e32 vcc_lo, v4, v12
	v_lshl_or_b32 v12, v10, 12, v6
	s_delay_alu instid0(VALU_DEP_3) | instskip(SKIP_3) | instid1(VALU_DEP_2)
	v_or_b32_e32 v9, v13, v9
	s_wait_alu 0xfffd
	v_cndmask_b32_e64 v4, 0, 1, vcc_lo
	v_cmp_gt_i32_e32 vcc_lo, 1, v8
	v_or_b32_e32 v4, v14, v4
	s_wait_alu 0xfffd
	v_cndmask_b32_e32 v9, v11, v9, vcc_lo
	v_cmp_gt_i32_e32 vcc_lo, 1, v10
	s_wait_alu 0xfffd
	s_delay_alu instid0(VALU_DEP_2) | instskip(SKIP_2) | instid1(VALU_DEP_3)
	v_dual_cndmask_b32 v4, v12, v4 :: v_dual_and_b32 v11, 7, v9
	v_cmp_ne_u32_e32 vcc_lo, 0, v2
	v_lshrrev_b32_e32 v9, 2, v9
	v_cmp_eq_u32_e64 s0, 3, v11
	s_delay_alu instid0(VALU_DEP_4)
	v_and_b32_e32 v12, 7, v4
	s_wait_alu 0xfffd
	v_cndmask_b32_e64 v2, 0, 1, vcc_lo
	v_cmp_ne_u32_e32 vcc_lo, 0, v6
	v_lshrrev_b32_e32 v4, 2, v4
	v_cmp_lt_i32_e64 s1, 5, v12
	v_cmp_eq_u32_e64 s2, 3, v12
	s_wait_alu 0xfffd
	v_cndmask_b32_e64 v6, 0, 1, vcc_lo
	v_cmp_lt_i32_e32 vcc_lo, 5, v11
	v_lshl_or_b32 v2, v2, 9, 0x7c00
	s_delay_alu instid0(VALU_DEP_3)
	v_lshl_or_b32 v6, v6, 9, 0x7c00
	s_or_b32 vcc_lo, s0, vcc_lo
	s_wait_alu 0xfffe
	v_add_co_ci_u32_e32 v9, vcc_lo, 0, v9, vcc_lo
	s_or_b32 vcc_lo, s2, s1
	s_wait_alu 0xfffe
	v_add_co_ci_u32_e32 v4, vcc_lo, 0, v4, vcc_lo
	v_cmp_gt_i32_e32 vcc_lo, 31, v8
	s_wait_alu 0xfffd
	v_cndmask_b32_e32 v9, 0x7c00, v9, vcc_lo
	v_cmp_gt_i32_e32 vcc_lo, 31, v10
	s_wait_alu 0xfffd
	v_cndmask_b32_e32 v4, 0x7c00, v4, vcc_lo
	v_cmp_eq_u32_e32 vcc_lo, 0x40f, v8
	s_wait_alu 0xfffd
	v_cndmask_b32_e32 v2, v9, v2, vcc_lo
	v_cmp_eq_u32_e32 vcc_lo, 0x40f, v10
	s_delay_alu instid0(VALU_DEP_2)
	v_and_or_b32 v2, 0x8000, v5, v2
	s_wait_alu 0xfffd
	v_cndmask_b32_e32 v4, v4, v6, vcc_lo
	v_add_co_u32 v0, vcc_lo, v0, s4
	s_wait_alu 0xfffd
	v_add_co_ci_u32_e32 v1, vcc_lo, s5, v1, vcc_lo
	s_delay_alu instid0(VALU_DEP_3) | instskip(SKIP_1) | instid1(VALU_DEP_1)
	v_and_or_b32 v4, 0x8000, v7, v4
	v_and_b32_e32 v2, 0xffff, v2
	v_lshl_or_b32 v2, v4, 16, v2
	v_lshrrev_b32_e32 v4, 16, v3
	global_store_b32 v[0:1], v2, off
	global_load_b32 v2, v41, s[12:13] offset:6272
	s_wait_loadcnt 0x0
	v_lshrrev_b32_e32 v5, 16, v2
	s_delay_alu instid0(VALU_DEP_1) | instskip(SKIP_1) | instid1(VALU_DEP_2)
	v_mul_f16_e32 v6, v4, v5
	v_mul_f16_e32 v5, v3, v5
	v_fmac_f16_e32 v6, v3, v2
	s_delay_alu instid0(VALU_DEP_2) | instskip(NEXT) | instid1(VALU_DEP_2)
	v_fma_f16 v2, v2, v4, -v5
	v_cvt_f32_f16_e32 v3, v6
	s_delay_alu instid0(VALU_DEP_2) | instskip(NEXT) | instid1(VALU_DEP_2)
	v_cvt_f32_f16_e32 v4, v2
	v_cvt_f64_f32_e32 v[2:3], v3
	s_delay_alu instid0(VALU_DEP_2) | instskip(NEXT) | instid1(VALU_DEP_2)
	v_cvt_f64_f32_e32 v[4:5], v4
	v_mul_f64_e32 v[2:3], s[8:9], v[2:3]
	s_delay_alu instid0(VALU_DEP_2) | instskip(NEXT) | instid1(VALU_DEP_2)
	v_mul_f64_e32 v[4:5], s[8:9], v[4:5]
	v_and_or_b32 v2, 0x1ff, v3, v2
	s_delay_alu instid0(VALU_DEP_2)
	v_and_or_b32 v4, 0x1ff, v5, v4
	v_lshrrev_b32_e32 v6, 8, v3
	v_bfe_u32 v7, v3, 20, 11
	v_lshrrev_b32_e32 v8, 8, v5
	v_cmp_ne_u32_e32 vcc_lo, 0, v2
	v_bfe_u32 v9, v5, 20, 11
	v_lshrrev_b32_e32 v3, 16, v3
	v_sub_nc_u32_e32 v10, 0x3f1, v7
	v_add_nc_u32_e32 v7, 0xfffffc10, v7
	s_wait_alu 0xfffd
	v_cndmask_b32_e64 v2, 0, 1, vcc_lo
	v_cmp_ne_u32_e32 vcc_lo, 0, v4
	v_lshrrev_b32_e32 v5, 16, v5
	s_delay_alu instid0(VALU_DEP_3) | instskip(SKIP_4) | instid1(VALU_DEP_3)
	v_and_or_b32 v2, 0xffe, v6, v2
	s_wait_alu 0xfffd
	v_cndmask_b32_e64 v4, 0, 1, vcc_lo
	v_sub_nc_u32_e32 v6, 0x3f1, v9
	v_add_nc_u32_e32 v9, 0xfffffc10, v9
	v_and_or_b32 v4, 0xffe, v8, v4
	v_med3_i32 v8, v10, 0, 13
	v_or_b32_e32 v10, 0x1000, v2
	v_med3_i32 v6, v6, 0, 13
	s_delay_alu instid0(VALU_DEP_4) | instskip(NEXT) | instid1(VALU_DEP_3)
	v_or_b32_e32 v11, 0x1000, v4
	v_lshrrev_b32_e32 v12, v8, v10
	s_delay_alu instid0(VALU_DEP_2) | instskip(NEXT) | instid1(VALU_DEP_2)
	v_lshrrev_b32_e32 v13, v6, v11
	v_lshlrev_b32_e32 v8, v8, v12
	s_delay_alu instid0(VALU_DEP_2) | instskip(NEXT) | instid1(VALU_DEP_2)
	v_lshlrev_b32_e32 v6, v6, v13
	v_cmp_ne_u32_e32 vcc_lo, v8, v10
	v_lshl_or_b32 v10, v7, 12, v2
	s_wait_alu 0xfffd
	v_cndmask_b32_e64 v8, 0, 1, vcc_lo
	v_cmp_ne_u32_e32 vcc_lo, v6, v11
	v_lshl_or_b32 v11, v9, 12, v4
	s_delay_alu instid0(VALU_DEP_3) | instskip(SKIP_3) | instid1(VALU_DEP_2)
	v_or_b32_e32 v8, v12, v8
	s_wait_alu 0xfffd
	v_cndmask_b32_e64 v6, 0, 1, vcc_lo
	v_cmp_gt_i32_e32 vcc_lo, 1, v7
	v_or_b32_e32 v6, v13, v6
	s_wait_alu 0xfffd
	v_cndmask_b32_e32 v8, v10, v8, vcc_lo
	v_cmp_gt_i32_e32 vcc_lo, 1, v9
	s_delay_alu instid0(VALU_DEP_2)
	v_and_b32_e32 v10, 7, v8
	s_wait_alu 0xfffd
	v_cndmask_b32_e32 v6, v11, v6, vcc_lo
	v_cmp_ne_u32_e32 vcc_lo, 0, v2
	v_lshrrev_b32_e32 v8, 2, v8
	v_cmp_eq_u32_e64 s0, 3, v10
	s_delay_alu instid0(VALU_DEP_4)
	v_and_b32_e32 v11, 7, v6
	s_wait_alu 0xfffd
	v_cndmask_b32_e64 v2, 0, 1, vcc_lo
	v_cmp_ne_u32_e32 vcc_lo, 0, v4
	v_lshrrev_b32_e32 v6, 2, v6
	v_cmp_lt_i32_e64 s1, 5, v11
	v_cmp_eq_u32_e64 s2, 3, v11
	s_wait_alu 0xfffd
	v_cndmask_b32_e64 v4, 0, 1, vcc_lo
	v_cmp_lt_i32_e32 vcc_lo, 5, v10
	v_lshl_or_b32 v2, v2, 9, 0x7c00
	s_delay_alu instid0(VALU_DEP_3)
	v_lshl_or_b32 v4, v4, 9, 0x7c00
	s_or_b32 vcc_lo, s0, vcc_lo
	s_wait_alu 0xfffe
	v_add_co_ci_u32_e32 v8, vcc_lo, 0, v8, vcc_lo
	s_or_b32 vcc_lo, s2, s1
	s_wait_alu 0xfffe
	v_add_co_ci_u32_e32 v6, vcc_lo, 0, v6, vcc_lo
	v_cmp_gt_i32_e32 vcc_lo, 31, v7
	s_wait_alu 0xfffd
	v_cndmask_b32_e32 v8, 0x7c00, v8, vcc_lo
	v_cmp_gt_i32_e32 vcc_lo, 31, v9
	s_wait_alu 0xfffd
	v_cndmask_b32_e32 v6, 0x7c00, v6, vcc_lo
	v_cmp_eq_u32_e32 vcc_lo, 0x40f, v7
	s_wait_alu 0xfffd
	v_cndmask_b32_e32 v2, v8, v2, vcc_lo
	v_cmp_eq_u32_e32 vcc_lo, 0x40f, v9
	s_delay_alu instid0(VALU_DEP_2)
	v_and_or_b32 v2, 0x8000, v3, v2
	s_wait_alu 0xfffd
	v_cndmask_b32_e32 v4, v6, v4, vcc_lo
	v_add_co_u32 v0, vcc_lo, v0, s4
	s_wait_alu 0xfffd
	v_add_co_ci_u32_e32 v1, vcc_lo, s5, v1, vcc_lo
	s_delay_alu instid0(VALU_DEP_3) | instskip(SKIP_1) | instid1(VALU_DEP_1)
	v_and_or_b32 v3, 0x8000, v5, v4
	v_and_b32_e32 v2, 0xffff, v2
	v_lshl_or_b32 v2, v3, 16, v2
	global_store_b32 v[0:1], v2, off
.LBB0_15:
	s_nop 0
	s_sendmsg sendmsg(MSG_DEALLOC_VGPRS)
	s_endpgm
	.section	.rodata,"a",@progbits
	.p2align	6, 0x0
	.amdhsa_kernel bluestein_single_back_len1666_dim1_half_op_CI_CI
		.amdhsa_group_segment_fixed_size 6664
		.amdhsa_private_segment_fixed_size 0
		.amdhsa_kernarg_size 104
		.amdhsa_user_sgpr_count 2
		.amdhsa_user_sgpr_dispatch_ptr 0
		.amdhsa_user_sgpr_queue_ptr 0
		.amdhsa_user_sgpr_kernarg_segment_ptr 1
		.amdhsa_user_sgpr_dispatch_id 0
		.amdhsa_user_sgpr_private_segment_size 0
		.amdhsa_wavefront_size32 1
		.amdhsa_uses_dynamic_stack 0
		.amdhsa_enable_private_segment 0
		.amdhsa_system_sgpr_workgroup_id_x 1
		.amdhsa_system_sgpr_workgroup_id_y 0
		.amdhsa_system_sgpr_workgroup_id_z 0
		.amdhsa_system_sgpr_workgroup_info 0
		.amdhsa_system_vgpr_workitem_id 0
		.amdhsa_next_free_vgpr 234
		.amdhsa_next_free_sgpr 16
		.amdhsa_reserve_vcc 1
		.amdhsa_float_round_mode_32 0
		.amdhsa_float_round_mode_16_64 0
		.amdhsa_float_denorm_mode_32 3
		.amdhsa_float_denorm_mode_16_64 3
		.amdhsa_fp16_overflow 0
		.amdhsa_workgroup_processor_mode 1
		.amdhsa_memory_ordered 1
		.amdhsa_forward_progress 0
		.amdhsa_round_robin_scheduling 0
		.amdhsa_exception_fp_ieee_invalid_op 0
		.amdhsa_exception_fp_denorm_src 0
		.amdhsa_exception_fp_ieee_div_zero 0
		.amdhsa_exception_fp_ieee_overflow 0
		.amdhsa_exception_fp_ieee_underflow 0
		.amdhsa_exception_fp_ieee_inexact 0
		.amdhsa_exception_int_div_zero 0
	.end_amdhsa_kernel
	.text
.Lfunc_end0:
	.size	bluestein_single_back_len1666_dim1_half_op_CI_CI, .Lfunc_end0-bluestein_single_back_len1666_dim1_half_op_CI_CI
                                        ; -- End function
	.section	.AMDGPU.csdata,"",@progbits
; Kernel info:
; codeLenInByte = 36888
; NumSgprs: 18
; NumVgprs: 234
; ScratchSize: 0
; MemoryBound: 0
; FloatMode: 240
; IeeeMode: 1
; LDSByteSize: 6664 bytes/workgroup (compile time only)
; SGPRBlocks: 2
; VGPRBlocks: 29
; NumSGPRsForWavesPerEU: 18
; NumVGPRsForWavesPerEU: 234
; Occupancy: 6
; WaveLimiterHint : 1
; COMPUTE_PGM_RSRC2:SCRATCH_EN: 0
; COMPUTE_PGM_RSRC2:USER_SGPR: 2
; COMPUTE_PGM_RSRC2:TRAP_HANDLER: 0
; COMPUTE_PGM_RSRC2:TGID_X_EN: 1
; COMPUTE_PGM_RSRC2:TGID_Y_EN: 0
; COMPUTE_PGM_RSRC2:TGID_Z_EN: 0
; COMPUTE_PGM_RSRC2:TIDIG_COMP_CNT: 0
	.text
	.p2alignl 7, 3214868480
	.fill 96, 4, 3214868480
	.type	__hip_cuid_4f3fc7f39276755d,@object ; @__hip_cuid_4f3fc7f39276755d
	.section	.bss,"aw",@nobits
	.globl	__hip_cuid_4f3fc7f39276755d
__hip_cuid_4f3fc7f39276755d:
	.byte	0                               ; 0x0
	.size	__hip_cuid_4f3fc7f39276755d, 1

	.ident	"AMD clang version 19.0.0git (https://github.com/RadeonOpenCompute/llvm-project roc-6.4.0 25133 c7fe45cf4b819c5991fe208aaa96edf142730f1d)"
	.section	".note.GNU-stack","",@progbits
	.addrsig
	.addrsig_sym __hip_cuid_4f3fc7f39276755d
	.amdgpu_metadata
---
amdhsa.kernels:
  - .args:
      - .actual_access:  read_only
        .address_space:  global
        .offset:         0
        .size:           8
        .value_kind:     global_buffer
      - .actual_access:  read_only
        .address_space:  global
        .offset:         8
        .size:           8
        .value_kind:     global_buffer
      - .actual_access:  read_only
        .address_space:  global
        .offset:         16
        .size:           8
        .value_kind:     global_buffer
      - .actual_access:  read_only
        .address_space:  global
        .offset:         24
        .size:           8
        .value_kind:     global_buffer
      - .actual_access:  read_only
        .address_space:  global
        .offset:         32
        .size:           8
        .value_kind:     global_buffer
      - .offset:         40
        .size:           8
        .value_kind:     by_value
      - .address_space:  global
        .offset:         48
        .size:           8
        .value_kind:     global_buffer
      - .address_space:  global
        .offset:         56
        .size:           8
        .value_kind:     global_buffer
      - .address_space:  global
        .offset:         64
        .size:           8
        .value_kind:     global_buffer
      - .address_space:  global
        .offset:         72
        .size:           8
        .value_kind:     global_buffer
      - .offset:         80
        .size:           4
        .value_kind:     by_value
      - .address_space:  global
        .offset:         88
        .size:           8
        .value_kind:     global_buffer
      - .address_space:  global
        .offset:         96
        .size:           8
        .value_kind:     global_buffer
    .group_segment_fixed_size: 6664
    .kernarg_segment_align: 8
    .kernarg_segment_size: 104
    .language:       OpenCL C
    .language_version:
      - 2
      - 0
    .max_flat_workgroup_size: 119
    .name:           bluestein_single_back_len1666_dim1_half_op_CI_CI
    .private_segment_fixed_size: 0
    .sgpr_count:     18
    .sgpr_spill_count: 0
    .symbol:         bluestein_single_back_len1666_dim1_half_op_CI_CI.kd
    .uniform_work_group_size: 1
    .uses_dynamic_stack: false
    .vgpr_count:     234
    .vgpr_spill_count: 0
    .wavefront_size: 32
    .workgroup_processor_mode: 1
amdhsa.target:   amdgcn-amd-amdhsa--gfx1201
amdhsa.version:
  - 1
  - 2
...

	.end_amdgpu_metadata
